;; amdgpu-corpus repo=ROCm/rocFFT kind=compiled arch=gfx950 opt=O3
	.text
	.amdgcn_target "amdgcn-amd-amdhsa--gfx950"
	.amdhsa_code_object_version 6
	.protected	fft_rtc_fwd_len3840_factors_10_6_2_2_2_2_2_2_wgs_128_tpt_128_halfLds_dp_ip_CI_unitstride_sbrr_dirReg ; -- Begin function fft_rtc_fwd_len3840_factors_10_6_2_2_2_2_2_2_wgs_128_tpt_128_halfLds_dp_ip_CI_unitstride_sbrr_dirReg
	.globl	fft_rtc_fwd_len3840_factors_10_6_2_2_2_2_2_2_wgs_128_tpt_128_halfLds_dp_ip_CI_unitstride_sbrr_dirReg
	.p2align	8
	.type	fft_rtc_fwd_len3840_factors_10_6_2_2_2_2_2_2_wgs_128_tpt_128_halfLds_dp_ip_CI_unitstride_sbrr_dirReg,@function
fft_rtc_fwd_len3840_factors_10_6_2_2_2_2_2_2_wgs_128_tpt_128_halfLds_dp_ip_CI_unitstride_sbrr_dirReg: ; @fft_rtc_fwd_len3840_factors_10_6_2_2_2_2_2_2_wgs_128_tpt_128_halfLds_dp_ip_CI_unitstride_sbrr_dirReg
; %bb.0:
	s_load_dwordx2 s[8:9], s[0:1], 0x50
	s_load_dwordx4 s[4:7], s[0:1], 0x0
	s_load_dwordx2 s[10:11], s[0:1], 0x18
	v_mov_b32_e32 v6, s2
	v_mov_b32_e32 v4, 0
	v_mov_b32_e32 v7, v4
	s_waitcnt lgkmcnt(0)
	v_cmp_lt_u64_e64 s[2:3], s[6:7], 2
	s_and_b64 vcc, exec, s[2:3]
	v_mov_b64_e32 v[2:3], 0
	s_cbranch_vccnz .LBB0_8
; %bb.1:
	s_load_dwordx2 s[2:3], s[0:1], 0x10
	s_add_u32 s12, s10, 8
	s_addc_u32 s13, s11, 0
	s_mov_b64 s[14:15], 1
	v_mov_b64_e32 v[2:3], 0
	s_waitcnt lgkmcnt(0)
	s_add_u32 s16, s2, 8
	s_addc_u32 s17, s3, 0
.LBB0_2:                                ; =>This Inner Loop Header: Depth=1
	s_load_dwordx2 s[18:19], s[16:17], 0x0
                                        ; implicit-def: $vgpr8_vgpr9
	s_waitcnt lgkmcnt(0)
	v_or_b32_e32 v5, s19, v7
	v_cmp_ne_u64_e32 vcc, 0, v[4:5]
	s_and_saveexec_b64 s[2:3], vcc
	s_xor_b64 s[20:21], exec, s[2:3]
	s_cbranch_execz .LBB0_4
; %bb.3:                                ;   in Loop: Header=BB0_2 Depth=1
	v_cvt_f32_u32_e32 v1, s18
	v_cvt_f32_u32_e32 v5, s19
	s_sub_u32 s2, 0, s18
	s_subb_u32 s3, 0, s19
	v_fmac_f32_e32 v1, 0x4f800000, v5
	v_rcp_f32_e32 v1, v1
	s_nop 0
	v_mul_f32_e32 v1, 0x5f7ffffc, v1
	v_mul_f32_e32 v5, 0x2f800000, v1
	v_trunc_f32_e32 v5, v5
	v_fmac_f32_e32 v1, 0xcf800000, v5
	v_cvt_u32_f32_e32 v5, v5
	v_cvt_u32_f32_e32 v1, v1
	v_mul_lo_u32 v8, s2, v5
	v_mul_hi_u32 v10, s2, v1
	v_mul_lo_u32 v9, s3, v1
	v_add_u32_e32 v10, v10, v8
	v_mul_lo_u32 v12, s2, v1
	v_add_u32_e32 v13, v10, v9
	v_mul_hi_u32 v8, v1, v12
	v_mul_hi_u32 v11, v1, v13
	v_mul_lo_u32 v10, v1, v13
	v_mov_b32_e32 v9, v4
	v_lshl_add_u64 v[8:9], v[8:9], 0, v[10:11]
	v_mul_hi_u32 v11, v5, v12
	v_mul_lo_u32 v12, v5, v12
	v_add_co_u32_e32 v8, vcc, v8, v12
	v_mul_hi_u32 v10, v5, v13
	s_nop 0
	v_addc_co_u32_e32 v8, vcc, v9, v11, vcc
	v_mov_b32_e32 v9, v4
	s_nop 0
	v_addc_co_u32_e32 v11, vcc, 0, v10, vcc
	v_mul_lo_u32 v10, v5, v13
	v_lshl_add_u64 v[8:9], v[8:9], 0, v[10:11]
	v_add_co_u32_e32 v1, vcc, v1, v8
	v_mul_lo_u32 v10, s2, v1
	s_nop 0
	v_addc_co_u32_e32 v5, vcc, v5, v9, vcc
	v_mul_lo_u32 v8, s2, v5
	v_mul_hi_u32 v9, s2, v1
	v_add_u32_e32 v8, v9, v8
	v_mul_lo_u32 v9, s3, v1
	v_add_u32_e32 v12, v8, v9
	v_mul_hi_u32 v14, v5, v10
	v_mul_lo_u32 v15, v5, v10
	v_mul_hi_u32 v9, v1, v12
	v_mul_lo_u32 v8, v1, v12
	v_mul_hi_u32 v10, v1, v10
	v_mov_b32_e32 v11, v4
	v_lshl_add_u64 v[8:9], v[10:11], 0, v[8:9]
	v_add_co_u32_e32 v8, vcc, v8, v15
	v_mul_hi_u32 v13, v5, v12
	s_nop 0
	v_addc_co_u32_e32 v8, vcc, v9, v14, vcc
	v_mul_lo_u32 v10, v5, v12
	s_nop 0
	v_addc_co_u32_e32 v11, vcc, 0, v13, vcc
	v_mov_b32_e32 v9, v4
	v_lshl_add_u64 v[8:9], v[8:9], 0, v[10:11]
	v_add_co_u32_e32 v1, vcc, v1, v8
	v_mul_hi_u32 v10, v6, v1
	s_nop 0
	v_addc_co_u32_e32 v5, vcc, v5, v9, vcc
	v_mad_u64_u32 v[8:9], s[2:3], v6, v5, 0
	v_mov_b32_e32 v11, v4
	v_lshl_add_u64 v[8:9], v[10:11], 0, v[8:9]
	v_mad_u64_u32 v[12:13], s[2:3], v7, v1, 0
	v_add_co_u32_e32 v1, vcc, v8, v12
	v_mad_u64_u32 v[10:11], s[2:3], v7, v5, 0
	s_nop 0
	v_addc_co_u32_e32 v8, vcc, v9, v13, vcc
	v_mov_b32_e32 v9, v4
	s_nop 0
	v_addc_co_u32_e32 v11, vcc, 0, v11, vcc
	v_lshl_add_u64 v[8:9], v[8:9], 0, v[10:11]
	v_mul_lo_u32 v1, s19, v8
	v_mul_lo_u32 v5, s18, v9
	v_mad_u64_u32 v[10:11], s[2:3], s18, v8, 0
	v_add3_u32 v1, v11, v5, v1
	v_sub_u32_e32 v5, v7, v1
	v_mov_b32_e32 v11, s19
	v_sub_co_u32_e32 v14, vcc, v6, v10
	v_lshl_add_u64 v[12:13], v[8:9], 0, 1
	s_nop 0
	v_subb_co_u32_e64 v5, s[2:3], v5, v11, vcc
	v_subrev_co_u32_e64 v10, s[2:3], s18, v14
	v_subb_co_u32_e32 v1, vcc, v7, v1, vcc
	s_nop 0
	v_subbrev_co_u32_e64 v5, s[2:3], 0, v5, s[2:3]
	v_cmp_le_u32_e64 s[2:3], s19, v5
	v_cmp_le_u32_e32 vcc, s19, v1
	s_nop 0
	v_cndmask_b32_e64 v11, 0, -1, s[2:3]
	v_cmp_le_u32_e64 s[2:3], s18, v10
	s_nop 1
	v_cndmask_b32_e64 v10, 0, -1, s[2:3]
	v_cmp_eq_u32_e64 s[2:3], s19, v5
	s_nop 1
	v_cndmask_b32_e64 v5, v11, v10, s[2:3]
	v_lshl_add_u64 v[10:11], v[8:9], 0, 2
	v_cmp_ne_u32_e64 s[2:3], 0, v5
	s_nop 1
	v_cndmask_b32_e64 v5, v13, v11, s[2:3]
	v_cndmask_b32_e64 v11, 0, -1, vcc
	v_cmp_le_u32_e32 vcc, s18, v14
	s_nop 1
	v_cndmask_b32_e64 v13, 0, -1, vcc
	v_cmp_eq_u32_e32 vcc, s19, v1
	s_nop 1
	v_cndmask_b32_e32 v1, v11, v13, vcc
	v_cmp_ne_u32_e32 vcc, 0, v1
	v_cndmask_b32_e64 v1, v12, v10, s[2:3]
	s_nop 0
	v_cndmask_b32_e32 v9, v9, v5, vcc
	v_cndmask_b32_e32 v8, v8, v1, vcc
.LBB0_4:                                ;   in Loop: Header=BB0_2 Depth=1
	s_andn2_saveexec_b64 s[2:3], s[20:21]
	s_cbranch_execz .LBB0_6
; %bb.5:                                ;   in Loop: Header=BB0_2 Depth=1
	v_cvt_f32_u32_e32 v1, s18
	s_sub_i32 s20, 0, s18
	v_rcp_iflag_f32_e32 v1, v1
	s_nop 0
	v_mul_f32_e32 v1, 0x4f7ffffe, v1
	v_cvt_u32_f32_e32 v1, v1
	v_mul_lo_u32 v5, s20, v1
	v_mul_hi_u32 v5, v1, v5
	v_add_u32_e32 v1, v1, v5
	v_mul_hi_u32 v1, v6, v1
	v_mul_lo_u32 v5, v1, s18
	v_sub_u32_e32 v5, v6, v5
	v_add_u32_e32 v8, 1, v1
	v_subrev_u32_e32 v9, s18, v5
	v_cmp_le_u32_e32 vcc, s18, v5
	s_nop 1
	v_cndmask_b32_e32 v5, v5, v9, vcc
	v_cndmask_b32_e32 v1, v1, v8, vcc
	v_add_u32_e32 v8, 1, v1
	v_cmp_le_u32_e32 vcc, s18, v5
	v_mov_b32_e32 v9, v4
	s_nop 0
	v_cndmask_b32_e32 v8, v1, v8, vcc
.LBB0_6:                                ;   in Loop: Header=BB0_2 Depth=1
	s_or_b64 exec, exec, s[2:3]
	v_mad_u64_u32 v[10:11], s[2:3], v8, s18, 0
	s_load_dwordx2 s[2:3], s[12:13], 0x0
	v_mul_lo_u32 v1, v9, s18
	v_mul_lo_u32 v5, v8, s19
	v_add3_u32 v1, v11, v5, v1
	v_sub_co_u32_e32 v5, vcc, v6, v10
	s_add_u32 s14, s14, 1
	s_nop 0
	v_subb_co_u32_e32 v1, vcc, v7, v1, vcc
	s_addc_u32 s15, s15, 0
	s_waitcnt lgkmcnt(0)
	v_mul_lo_u32 v1, s2, v1
	v_mul_lo_u32 v6, s3, v5
	v_mad_u64_u32 v[2:3], s[2:3], s2, v5, v[2:3]
	s_add_u32 s12, s12, 8
	v_add3_u32 v3, v6, v3, v1
	s_addc_u32 s13, s13, 0
	v_mov_b64_e32 v[6:7], s[6:7]
	s_add_u32 s16, s16, 8
	v_cmp_ge_u64_e32 vcc, s[14:15], v[6:7]
	s_addc_u32 s17, s17, 0
	s_cbranch_vccnz .LBB0_9
; %bb.7:                                ;   in Loop: Header=BB0_2 Depth=1
	v_mov_b64_e32 v[6:7], v[8:9]
	s_branch .LBB0_2
.LBB0_8:
	v_mov_b64_e32 v[8:9], v[6:7]
.LBB0_9:
	s_lshl_b64 s[2:3], s[6:7], 3
	s_add_u32 s2, s10, s2
	s_addc_u32 s3, s11, s3
	s_load_dwordx2 s[6:7], s[2:3], 0x0
	s_load_dwordx2 s[10:11], s[0:1], 0x20
                                        ; implicit-def: $vgpr134_vgpr135
                                        ; implicit-def: $vgpr136_vgpr137
                                        ; implicit-def: $vgpr132_vgpr133
                                        ; implicit-def: $vgpr130_vgpr131
                                        ; implicit-def: $vgpr146_vgpr147
                                        ; implicit-def: $vgpr140
                                        ; implicit-def: $vgpr138
                                        ; implicit-def: $vgpr144
                                        ; implicit-def: $vgpr142
                                        ; implicit-def: $vgpr152_vgpr153
                                        ; implicit-def: $vgpr150_vgpr151
                                        ; implicit-def: $vgpr148_vgpr149
	s_waitcnt lgkmcnt(0)
	v_mul_lo_u32 v1, s6, v9
	v_mul_lo_u32 v4, s7, v8
	v_mad_u64_u32 v[2:3], s[0:1], s6, v8, v[2:3]
	v_add3_u32 v3, v4, v3, v1
	v_cmp_gt_u64_e32 vcc, s[10:11], v[8:9]
	v_cmp_le_u64_e64 s[0:1], s[10:11], v[8:9]
	s_and_saveexec_b64 s[2:3], s[0:1]
	s_xor_b64 s[0:1], exec, s[2:3]
	s_cbranch_execz .LBB0_11
; %bb.10:
	v_or_b32_e32 v147, 0x180, v0
	v_or_b32_e32 v146, 0x200, v0
	;; [unrolled: 1-line block ×3, first 2 shown]
	v_mov_b32_e32 v1, 0
	v_or_b32_e32 v140, 0x80, v0
	v_or_b32_e32 v138, 0x100, v0
	;; [unrolled: 1-line block ×11, first 2 shown]
	v_mov_b32_e32 v141, v1
	v_mov_b32_e32 v139, v1
	;; [unrolled: 1-line block ×9, first 2 shown]
.LBB0_11:
	s_or_saveexec_b64 s[0:1], s[0:1]
	v_lshl_add_u64 v[126:127], v[2:3], 4, s[8:9]
	v_lshlrev_b32_e32 v128, 4, v0
                                        ; implicit-def: $vgpr16_vgpr17
                                        ; implicit-def: $vgpr32_vgpr33
                                        ; implicit-def: $vgpr12_vgpr13
                                        ; implicit-def: $vgpr28_vgpr29
                                        ; implicit-def: $vgpr24_vgpr25
                                        ; implicit-def: $vgpr40_vgpr41
                                        ; implicit-def: $vgpr20_vgpr21
                                        ; implicit-def: $vgpr36_vgpr37
                                        ; implicit-def: $vgpr8_vgpr9
                                        ; implicit-def: $vgpr4_vgpr5
                                        ; implicit-def: $vgpr92_vgpr93
                                        ; implicit-def: $vgpr112_vgpr113
                                        ; implicit-def: $vgpr84_vgpr85
                                        ; implicit-def: $vgpr108_vgpr109
                                        ; implicit-def: $vgpr104_vgpr105
                                        ; implicit-def: $vgpr120_vgpr121
                                        ; implicit-def: $vgpr88_vgpr89
                                        ; implicit-def: $vgpr116_vgpr117
                                        ; implicit-def: $vgpr48_vgpr49
                                        ; implicit-def: $vgpr44_vgpr45
                                        ; implicit-def: $vgpr70_vgpr71
                                        ; implicit-def: $vgpr100_vgpr101
                                        ; implicit-def: $vgpr60_vgpr61
                                        ; implicit-def: $vgpr96_vgpr97
                                        ; implicit-def: $vgpr78_vgpr79
                                        ; implicit-def: $vgpr124_vgpr125
                                        ; implicit-def: $vgpr74_vgpr75
                                        ; implicit-def: $vgpr56_vgpr57
                                        ; implicit-def: $vgpr52_vgpr53
                                        ; implicit-def: $vgpr66_vgpr67
	s_xor_b64 exec, exec, s[0:1]
	s_cbranch_execz .LBB0_13
; %bb.12:
	v_mov_b32_e32 v1, 0
	v_or_b32_e32 v137, 0x580, v0
	v_lshlrev_b32_e32 v42, 4, v137
	v_mov_b32_e32 v43, v1
	v_or_b32_e32 v142, 0x700, v0
	v_lshl_add_u64 v[62:63], v[126:127], 0, v[42:43]
	v_lshlrev_b32_e32 v42, 4, v142
	v_or_b32_e32 v147, 0x180, v0
	v_or_b32_e32 v130, 0x300, v0
	v_lshl_add_u64 v[80:81], v[126:127], 0, v[42:43]
	v_or_b32_e32 v42, 0x8800, v128
	v_lshlrev_b32_e32 v4, 4, v147
	v_mov_b32_e32 v5, v1
	v_lshlrev_b32_e32 v6, 4, v130
	v_mov_b32_e32 v7, v1
	v_lshl_add_u64 v[140:141], v[126:127], 0, v[42:43]
	v_or_b32_e32 v42, 0xa000, v128
	v_or_b32_e32 v146, 0x200, v0
	v_lshl_add_u64 v[4:5], v[126:127], 0, v[4:5]
	v_or_b32_e32 v131, 0x380, v0
	v_lshl_add_u64 v[6:7], v[126:127], 0, v[6:7]
	v_or_b32_e32 v133, 0x480, v0
	v_or_b32_e32 v132, 0x400, v0
	;; [unrolled: 1-line block ×7, first 2 shown]
	v_lshl_add_u64 v[148:149], v[126:127], 0, v[42:43]
	v_or_b32_e32 v42, 0xb800, v128
	v_mov_b32_e32 v129, v1
	global_load_dwordx4 v[50:53], v[4:5], off
	global_load_dwordx4 v[54:57], v[6:7], off
	v_lshlrev_b32_e32 v4, 4, v133
	v_mov_b32_e32 v5, v1
	v_lshlrev_b32_e32 v6, 4, v134
	v_mov_b32_e32 v7, v1
	v_or_b32_e32 v8, 0x7800, v128
	v_mov_b32_e32 v9, v1
	v_or_b32_e32 v10, 0x9000, v128
	v_mov_b32_e32 v11, v1
	v_or_b32_e32 v12, 0xa800, v128
	v_mov_b32_e32 v13, v1
	v_or_b32_e32 v14, 0xc000, v128
	v_mov_b32_e32 v15, v1
	v_or_b32_e32 v16, 0xd800, v128
	v_mov_b32_e32 v17, v1
	v_lshlrev_b32_e32 v18, 4, v146
	v_mov_b32_e32 v19, v1
	v_lshlrev_b32_e32 v20, 4, v131
	;; [unrolled: 2-line block ×4, first 2 shown]
	v_mov_b32_e32 v25, v1
	v_or_b32_e32 v26, 0x8000, v128
	v_mov_b32_e32 v27, v1
	v_or_b32_e32 v28, 0x9800, v128
	;; [unrolled: 2-line block ×5, first 2 shown]
	v_mov_b32_e32 v35, v1
	v_lshlrev_b32_e32 v36, 4, v138
	v_mov_b32_e32 v37, v1
	v_lshlrev_b32_e32 v38, 4, v144
	v_mov_b32_e32 v39, v1
	v_lshlrev_b32_e32 v40, 4, v132
	v_mov_b32_e32 v41, v1
	v_lshl_add_u64 v[150:151], v[126:127], 0, v[42:43]
	v_or_b32_e32 v42, 0xd000, v128
	v_lshl_add_u64 v[2:3], v[126:127], 0, v[128:129]
	v_lshl_add_u64 v[4:5], v[126:127], 0, v[4:5]
	;; [unrolled: 1-line block ×21, first 2 shown]
	v_or_b32_e32 v42, 0xe800, v128
	v_lshl_add_u64 v[154:155], v[126:127], 0, v[42:43]
	global_load_dwordx4 v[72:75], v[4:5], off
	global_load_dwordx4 v[122:125], v[6:7], off
	;; [unrolled: 1-line block ×7, first 2 shown]
	global_load_dwordx4 v[42:45], v[2:3], off offset:2048
	global_load_dwordx4 v[68:71], v[16:17], off
	global_load_dwordx4 v[46:49], v[18:19], off
	;; [unrolled: 1-line block ×4, first 2 shown]
                                        ; kill: killed $vgpr2_vgpr3
                                        ; kill: killed $vgpr20_vgpr21
                                        ; kill: killed $vgpr12_vgpr13
                                        ; kill: killed $vgpr4_vgpr5
                                        ; kill: killed $vgpr16_vgpr17
                                        ; kill: killed $vgpr10_vgpr11
                                        ; kill: killed $vgpr22_vgpr23
                                        ; kill: killed $vgpr14_vgpr15
                                        ; kill: killed $vgpr6_vgpr7
                                        ; kill: killed $vgpr18_vgpr19
                                        ; kill: killed $vgpr8_vgpr9
	global_load_dwordx4 v[118:121], v[24:25], off
	global_load_dwordx4 v[102:105], v[26:27], off
	;; [unrolled: 1-line block ×5, first 2 shown]
                                        ; kill: killed $vgpr28_vgpr29
                                        ; kill: killed $vgpr32_vgpr33
                                        ; kill: killed $vgpr26_vgpr27
                                        ; kill: killed $vgpr30_vgpr31
                                        ; kill: killed $vgpr24_vgpr25
	global_load_dwordx4 v[90:93], v[34:35], off
	global_load_dwordx4 v[2:5], v[36:37], off
	global_load_dwordx4 v[6:9], v[38:39], off
                                        ; kill: killed $vgpr34_vgpr35
                                        ; kill: killed $vgpr36_vgpr37
                                        ; kill: killed $vgpr38_vgpr39
	s_nop 0
	global_load_dwordx4 v[34:37], v[40:41], off
	global_load_dwordx4 v[18:21], v[62:63], off
	s_nop 0
	global_load_dwordx4 v[38:41], v[80:81], off
	global_load_dwordx4 v[22:25], v[140:141], off
	;; [unrolled: 1-line block ×6, first 2 shown]
	v_mov_b32_e32 v152, v147
	v_mov_b32_e32 v153, v1
	;; [unrolled: 1-line block ×4, first 2 shown]
	v_or_b32_e32 v140, 0x80, v0
	v_mov_b32_e32 v141, v1
	v_mov_b32_e32 v150, v146
	;; [unrolled: 1-line block ×5, first 2 shown]
.LBB0_13:
	s_or_b64 exec, exec, s[0:1]
	s_waitcnt vmcnt(24)
	v_add_f64 v[62:63], v[94:95], v[122:123]
	s_mov_b32 s8, 0x134454ff
	s_waitcnt vmcnt(21)
	v_fma_f64 v[62:63], -0.5, v[62:63], v[64:65]
	v_add_f64 v[154:155], v[56:57], -v[100:101]
	s_mov_b32 s9, 0x3fee6f0e
	s_mov_b32 s10, 0x4755a5e
	;; [unrolled: 1-line block ×4, first 2 shown]
	v_fma_f64 v[156:157], s[8:9], v[154:155], v[62:63]
	v_add_f64 v[158:159], v[124:125], -v[96:97]
	s_mov_b32 s11, 0x3fe2cf23
	v_add_f64 v[160:161], v[54:55], -v[122:123]
	v_add_f64 v[162:163], v[98:99], -v[94:95]
	s_mov_b32 s0, 0x372fe950
	v_fmac_f64_e32 v[62:63], s[6:7], v[154:155]
	s_mov_b32 s3, 0xbfe2cf23
	s_mov_b32 s2, s10
	v_fmac_f64_e32 v[156:157], s[10:11], v[158:159]
	v_add_f64 v[160:161], v[162:163], v[160:161]
	s_mov_b32 s1, 0x3fd3c6ef
	v_fmac_f64_e32 v[62:63], s[2:3], v[158:159]
	v_fmac_f64_e32 v[156:157], s[0:1], v[160:161]
	;; [unrolled: 1-line block ×3, first 2 shown]
	v_add_f64 v[160:161], v[98:99], v[54:55]
	v_add_f64 v[80:81], v[54:55], v[64:65]
	v_fmac_f64_e32 v[64:65], -0.5, v[160:161]
	v_fma_f64 v[160:161], s[6:7], v[158:159], v[64:65]
	v_add_f64 v[162:163], v[122:123], -v[54:55]
	v_add_f64 v[164:165], v[94:95], -v[98:99]
	v_fmac_f64_e32 v[64:65], s[8:9], v[158:159]
	v_fmac_f64_e32 v[160:161], s[10:11], v[154:155]
	v_add_f64 v[162:163], v[164:165], v[162:163]
	v_fmac_f64_e32 v[64:65], s[2:3], v[154:155]
	v_add_f64 v[154:155], v[96:97], v[124:125]
	v_fmac_f64_e32 v[160:161], s[0:1], v[162:163]
	v_fmac_f64_e32 v[64:65], s[0:1], v[162:163]
	v_fma_f64 v[154:155], -0.5, v[154:155], v[66:67]
	v_add_f64 v[162:163], v[54:55], -v[98:99]
	v_add_f64 v[54:55], v[56:57], -v[124:125]
	;; [unrolled: 1-line block ×3, first 2 shown]
	v_add_f64 v[54:55], v[158:159], v[54:55]
	v_fma_f64 v[158:159], s[6:7], v[162:163], v[154:155]
	v_add_f64 v[164:165], v[122:123], -v[94:95]
	v_fmac_f64_e32 v[154:155], s[8:9], v[162:163]
	v_fmac_f64_e32 v[158:159], s[2:3], v[164:165]
	;; [unrolled: 1-line block ×5, first 2 shown]
	v_add_f64 v[54:55], v[122:123], v[80:81]
	v_add_f64 v[80:81], v[56:57], v[66:67]
	v_add_f64 v[166:167], v[124:125], -v[56:57]
	v_add_f64 v[56:57], v[100:101], v[56:57]
	v_fmac_f64_e32 v[66:67], -0.5, v[56:57]
	v_fma_f64 v[122:123], s[8:9], v[164:165], v[66:67]
	v_add_f64 v[56:57], v[96:97], -v[100:101]
	v_fmac_f64_e32 v[66:67], s[6:7], v[164:165]
	v_fmac_f64_e32 v[122:123], s[2:3], v[162:163]
	v_add_f64 v[56:57], v[56:57], v[166:167]
	v_fmac_f64_e32 v[66:67], s[10:11], v[162:163]
	v_add_f64 v[80:81], v[124:125], v[80:81]
	v_fmac_f64_e32 v[122:123], s[0:1], v[56:57]
	v_fmac_f64_e32 v[66:67], s[0:1], v[56:57]
	v_add_f64 v[56:57], v[58:59], v[76:77]
	v_add_f64 v[54:55], v[94:95], v[54:55]
	;; [unrolled: 1-line block ×3, first 2 shown]
	v_fma_f64 v[56:57], -0.5, v[56:57], v[50:51]
	s_waitcnt vmcnt(19)
	v_add_f64 v[94:95], v[74:75], -v[70:71]
	v_add_f64 v[54:55], v[98:99], v[54:55]
	v_add_f64 v[124:125], v[100:101], v[80:81]
	v_fma_f64 v[98:99], s[8:9], v[94:95], v[56:57]
	v_add_f64 v[100:101], v[78:79], -v[60:61]
	v_add_f64 v[80:81], v[72:73], -v[76:77]
	;; [unrolled: 1-line block ×3, first 2 shown]
	v_fmac_f64_e32 v[56:57], s[6:7], v[94:95]
	v_fmac_f64_e32 v[98:99], s[10:11], v[100:101]
	v_add_f64 v[80:81], v[162:163], v[80:81]
	v_fmac_f64_e32 v[56:57], s[2:3], v[100:101]
	v_fmac_f64_e32 v[98:99], s[0:1], v[80:81]
	;; [unrolled: 1-line block ×3, first 2 shown]
	v_add_f64 v[80:81], v[68:69], v[72:73]
	v_add_f64 v[96:97], v[72:73], v[50:51]
	v_fmac_f64_e32 v[50:51], -0.5, v[80:81]
	v_add_f64 v[162:163], v[76:77], -v[72:73]
	v_add_f64 v[164:165], v[58:59], -v[68:69]
	v_fma_f64 v[80:81], s[6:7], v[100:101], v[50:51]
	v_add_f64 v[162:163], v[164:165], v[162:163]
	v_fmac_f64_e32 v[50:51], s[8:9], v[100:101]
	v_add_f64 v[164:165], v[76:77], -v[58:59]
	v_add_f64 v[76:77], v[76:77], v[96:97]
	v_add_f64 v[96:97], v[74:75], v[52:53]
	v_fmac_f64_e32 v[80:81], s[10:11], v[94:95]
	v_fmac_f64_e32 v[50:51], s[2:3], v[94:95]
	v_add_f64 v[94:95], v[60:61], v[78:79]
	v_add_f64 v[100:101], v[74:75], -v[78:79]
	v_add_f64 v[96:97], v[78:79], v[96:97]
	v_add_f64 v[78:79], v[78:79], -v[74:75]
	v_add_f64 v[74:75], v[70:71], v[74:75]
	v_fma_f64 v[94:95], -0.5, v[94:95], v[52:53]
	v_add_f64 v[58:59], v[58:59], v[76:77]
	v_fmac_f64_e32 v[52:53], -0.5, v[74:75]
	v_fmac_f64_e32 v[80:81], s[0:1], v[162:163]
	v_fmac_f64_e32 v[50:51], s[0:1], v[162:163]
	v_add_f64 v[72:73], v[72:73], -v[68:69]
	v_add_f64 v[162:163], v[70:71], -v[60:61]
	v_add_f64 v[58:59], v[68:69], v[58:59]
	v_add_f64 v[68:69], v[60:61], v[96:97]
	v_fma_f64 v[96:97], s[8:9], v[164:165], v[52:53]
	v_add_f64 v[60:61], v[60:61], -v[70:71]
	v_fmac_f64_e32 v[52:53], s[6:7], v[164:165]
	v_add_f64 v[100:101], v[162:163], v[100:101]
	v_fma_f64 v[162:163], s[6:7], v[72:73], v[94:95]
	v_fmac_f64_e32 v[94:95], s[8:9], v[72:73]
	v_add_f64 v[60:61], v[60:61], v[78:79]
	v_fmac_f64_e32 v[52:53], s[10:11], v[72:73]
	s_mov_b32 s12, 0x9b97f4a8
	v_fmac_f64_e32 v[162:163], s[2:3], v[164:165]
	v_fmac_f64_e32 v[94:95], s[10:11], v[164:165]
	;; [unrolled: 1-line block ×4, first 2 shown]
	s_mov_b32 s13, 0x3fe9e377
	v_mul_f64 v[76:77], v[50:51], s[0:1]
	v_fmac_f64_e32 v[162:163], s[0:1], v[100:101]
	v_fmac_f64_e32 v[94:95], s[0:1], v[100:101]
	;; [unrolled: 1-line block ×3, first 2 shown]
	v_mul_f64 v[60:61], v[98:99], s[12:13]
	v_fma_f64 v[164:165], v[52:53], s[8:9], -v[76:77]
	v_mul_f64 v[168:169], v[98:99], s[2:3]
	v_mul_f64 v[52:53], v[52:53], s[0:1]
	;; [unrolled: 1-line block ×3, first 2 shown]
	v_fmac_f64_e32 v[60:61], s[10:11], v[162:163]
	v_mul_f64 v[78:79], v[56:57], s[12:13]
	v_fmac_f64_e32 v[168:169], s[12:13], v[162:163]
	v_fma_f64 v[162:163], v[50:51], s[6:7], -v[52:53]
	v_fmac_f64_e32 v[170:171], s[0:1], v[96:97]
	v_mul_f64 v[50:51], v[94:95], s[12:13]
	v_add_f64 v[68:69], v[70:71], v[68:69]
	v_add_f64 v[70:71], v[58:59], v[54:55]
	v_mul_f64 v[100:101], v[80:81], s[0:1]
	v_add_f64 v[76:77], v[64:65], v[164:165]
	v_fma_f64 v[166:167], v[94:95], s[10:11], -v[78:79]
	v_fma_f64 v[172:173], v[56:57], s[2:3], -v[50:51]
	v_add_f64 v[80:81], v[54:55], -v[58:59]
	v_add_f64 v[54:55], v[122:123], v[170:171]
	v_add_f64 v[94:95], v[64:65], -v[164:165]
	v_add_f64 v[64:65], v[122:123], -v[170:171]
	s_waitcnt vmcnt(13)
	v_add_f64 v[122:123], v[106:107], v[118:119]
	v_add_f64 v[72:73], v[156:157], v[60:61]
	;; [unrolled: 1-line block ×3, first 2 shown]
	v_add_f64 v[98:99], v[156:157], -v[60:61]
	v_add_f64 v[58:59], v[154:155], v[172:173]
	v_add_f64 v[60:61], v[124:125], -v[68:69]
	v_add_f64 v[68:69], v[154:155], -v[172:173]
	v_fma_f64 v[156:157], -0.5, v[122:123], v[42:43]
	s_waitcnt vmcnt(11)
	v_add_f64 v[154:155], v[116:117], -v[112:113]
	v_fmac_f64_e32 v[100:101], s[8:9], v[96:97]
	v_add_f64 v[78:79], v[62:63], v[166:167]
	v_add_f64 v[52:53], v[158:159], v[168:169]
	;; [unrolled: 1-line block ×3, first 2 shown]
	v_add_f64 v[96:97], v[62:63], -v[166:167]
	v_add_f64 v[62:63], v[158:159], -v[168:169]
	;; [unrolled: 1-line block ×3, first 2 shown]
	v_fma_f64 v[122:123], s[8:9], v[154:155], v[156:157]
	v_add_f64 v[158:159], v[120:121], -v[108:109]
	v_add_f64 v[124:125], v[114:115], -v[118:119]
	;; [unrolled: 1-line block ×3, first 2 shown]
	v_fmac_f64_e32 v[156:157], s[6:7], v[154:155]
	v_fmac_f64_e32 v[122:123], s[10:11], v[158:159]
	v_add_f64 v[124:125], v[162:163], v[124:125]
	v_fmac_f64_e32 v[156:157], s[2:3], v[158:159]
	v_fmac_f64_e32 v[122:123], s[0:1], v[124:125]
	;; [unrolled: 1-line block ×3, first 2 shown]
	v_add_f64 v[124:125], v[110:111], v[114:115]
	v_add_f64 v[74:75], v[160:161], v[100:101]
	v_add_f64 v[100:101], v[160:161], -v[100:101]
	v_add_f64 v[160:161], v[114:115], v[42:43]
	v_fmac_f64_e32 v[42:43], -0.5, v[124:125]
	v_fma_f64 v[124:125], s[6:7], v[158:159], v[42:43]
	v_add_f64 v[162:163], v[118:119], -v[114:115]
	v_add_f64 v[164:165], v[106:107], -v[110:111]
	v_fmac_f64_e32 v[42:43], s[8:9], v[158:159]
	v_fmac_f64_e32 v[124:125], s[10:11], v[154:155]
	v_add_f64 v[162:163], v[164:165], v[162:163]
	v_fmac_f64_e32 v[42:43], s[2:3], v[154:155]
	v_add_f64 v[154:155], v[108:109], v[120:121]
	v_fmac_f64_e32 v[124:125], s[0:1], v[162:163]
	v_fmac_f64_e32 v[42:43], s[0:1], v[162:163]
	v_fma_f64 v[154:155], -0.5, v[154:155], v[44:45]
	v_add_f64 v[114:115], v[114:115], -v[110:111]
	v_add_f64 v[158:159], v[116:117], -v[120:121]
	;; [unrolled: 1-line block ×4, first 2 shown]
	v_add_f64 v[118:119], v[118:119], v[160:161]
	v_add_f64 v[160:161], v[116:117], v[44:45]
	;; [unrolled: 1-line block ×3, first 2 shown]
	v_fma_f64 v[158:159], s[6:7], v[114:115], v[154:155]
	v_fmac_f64_e32 v[154:155], s[8:9], v[114:115]
	v_add_f64 v[160:161], v[120:121], v[160:161]
	v_add_f64 v[106:107], v[106:107], v[118:119]
	v_fmac_f64_e32 v[158:159], s[2:3], v[164:165]
	v_fmac_f64_e32 v[154:155], s[10:11], v[164:165]
	v_add_f64 v[118:119], v[110:111], v[106:107]
	v_add_f64 v[106:107], v[108:109], v[160:161]
	v_fmac_f64_e32 v[158:159], s[0:1], v[162:163]
	v_fmac_f64_e32 v[154:155], s[0:1], v[162:163]
	v_add_f64 v[162:163], v[112:113], v[106:107]
	v_add_f64 v[106:107], v[112:113], v[116:117]
	v_fmac_f64_e32 v[44:45], -0.5, v[106:107]
	v_add_f64 v[106:107], v[108:109], -v[112:113]
	v_add_f64 v[108:109], v[82:83], v[102:103]
	v_add_f64 v[120:121], v[120:121], -v[116:117]
	v_fma_f64 v[160:161], s[8:9], v[164:165], v[44:45]
	v_fmac_f64_e32 v[44:45], s[6:7], v[164:165]
	v_fma_f64 v[116:117], -0.5, v[108:109], v[46:47]
	s_waitcnt vmcnt(10)
	v_add_f64 v[108:109], v[88:89], -v[92:93]
	v_fmac_f64_e32 v[160:161], s[2:3], v[114:115]
	v_add_f64 v[106:107], v[106:107], v[120:121]
	v_fmac_f64_e32 v[44:45], s[10:11], v[114:115]
	v_fma_f64 v[114:115], s[8:9], v[108:109], v[116:117]
	v_add_f64 v[110:111], v[104:105], -v[84:85]
	v_add_f64 v[112:113], v[86:87], -v[102:103]
	;; [unrolled: 1-line block ×3, first 2 shown]
	v_fmac_f64_e32 v[116:117], s[6:7], v[108:109]
	v_fmac_f64_e32 v[114:115], s[10:11], v[110:111]
	v_add_f64 v[112:113], v[120:121], v[112:113]
	v_fmac_f64_e32 v[116:117], s[2:3], v[110:111]
	v_fmac_f64_e32 v[114:115], s[0:1], v[112:113]
	;; [unrolled: 1-line block ×3, first 2 shown]
	v_add_f64 v[112:113], v[90:91], v[86:87]
	v_fmac_f64_e32 v[160:161], s[0:1], v[106:107]
	v_fmac_f64_e32 v[44:45], s[0:1], v[106:107]
	v_add_f64 v[106:107], v[86:87], v[46:47]
	v_fmac_f64_e32 v[46:47], -0.5, v[112:113]
	v_fma_f64 v[120:121], s[6:7], v[110:111], v[46:47]
	v_fmac_f64_e32 v[46:47], s[8:9], v[110:111]
	v_fmac_f64_e32 v[120:121], s[10:11], v[108:109]
	v_add_f64 v[112:113], v[102:103], -v[86:87]
	v_add_f64 v[164:165], v[82:83], -v[90:91]
	v_fmac_f64_e32 v[46:47], s[2:3], v[108:109]
	v_add_f64 v[108:109], v[84:85], v[104:105]
	v_add_f64 v[112:113], v[164:165], v[112:113]
	v_fma_f64 v[164:165], -0.5, v[108:109], v[48:49]
	v_add_f64 v[108:109], v[88:89], -v[104:105]
	v_add_f64 v[110:111], v[92:93], -v[84:85]
	v_add_f64 v[108:109], v[110:111], v[108:109]
	v_add_f64 v[110:111], v[102:103], -v[82:83]
	v_add_f64 v[102:103], v[102:103], v[106:107]
	v_add_f64 v[106:107], v[88:89], v[48:49]
	v_add_f64 v[106:107], v[104:105], v[106:107]
	v_add_f64 v[104:105], v[104:105], -v[88:89]
	v_add_f64 v[88:89], v[92:93], v[88:89]
	v_add_f64 v[82:83], v[82:83], v[102:103]
	v_fmac_f64_e32 v[48:49], -0.5, v[88:89]
	v_add_f64 v[86:87], v[86:87], -v[90:91]
	v_add_f64 v[82:83], v[90:91], v[82:83]
	v_add_f64 v[90:91], v[84:85], v[106:107]
	v_fma_f64 v[88:89], s[8:9], v[110:111], v[48:49]
	v_add_f64 v[84:85], v[84:85], -v[92:93]
	v_fmac_f64_e32 v[48:49], s[6:7], v[110:111]
	v_fmac_f64_e32 v[46:47], s[0:1], v[112:113]
	v_fma_f64 v[166:167], s[6:7], v[86:87], v[164:165]
	v_fmac_f64_e32 v[164:165], s[8:9], v[86:87]
	v_fmac_f64_e32 v[88:89], s[2:3], v[86:87]
	v_add_f64 v[84:85], v[84:85], v[104:105]
	v_fmac_f64_e32 v[48:49], s[10:11], v[86:87]
	v_fmac_f64_e32 v[166:167], s[2:3], v[110:111]
	;; [unrolled: 1-line block ×5, first 2 shown]
	v_mul_f64 v[84:85], v[46:47], s[0:1]
	v_fmac_f64_e32 v[166:167], s[0:1], v[108:109]
	v_fmac_f64_e32 v[164:165], s[0:1], v[108:109]
	v_mul_f64 v[86:87], v[114:115], s[12:13]
	v_fma_f64 v[102:103], v[48:49], s[8:9], -v[84:85]
	v_mul_f64 v[168:169], v[114:115], s[2:3]
	v_mul_f64 v[48:49], v[48:49], s[0:1]
	v_fmac_f64_e32 v[120:121], s[0:1], v[112:113]
	v_fmac_f64_e32 v[86:87], s[10:11], v[166:167]
	v_mul_f64 v[84:85], v[116:117], s[12:13]
	v_fmac_f64_e32 v[168:169], s[12:13], v[166:167]
	v_fma_f64 v[166:167], v[46:47], s[6:7], -v[48:49]
	v_mul_f64 v[46:47], v[164:165], s[12:13]
	v_add_f64 v[90:91], v[92:93], v[90:91]
	v_add_f64 v[106:107], v[82:83], v[118:119]
	v_mul_f64 v[92:93], v[120:121], s[0:1]
	v_add_f64 v[112:113], v[42:43], v[102:103]
	v_fma_f64 v[104:105], v[164:165], s[10:11], -v[84:85]
	v_mul_f64 v[170:171], v[120:121], s[6:7]
	v_fma_f64 v[164:165], v[116:117], s[2:3], -v[46:47]
	v_add_f64 v[116:117], v[118:119], -v[82:83]
	v_add_f64 v[118:119], v[42:43], -v[102:103]
	s_waitcnt vmcnt(3)
	v_add_f64 v[42:43], v[26:27], v[38:39]
	v_fmac_f64_e32 v[92:93], s[8:9], v[88:89]
	v_fmac_f64_e32 v[170:171], s[0:1], v[88:89]
	v_add_f64 v[84:85], v[44:45], v[166:167]
	v_add_f64 v[102:103], v[44:45], -v[166:167]
	v_fma_f64 v[44:45], -0.5, v[42:43], v[2:3]
	s_waitcnt vmcnt(1)
	v_add_f64 v[42:43], v[36:37], -v[32:33]
	v_add_f64 v[108:109], v[122:123], v[86:87]
	v_add_f64 v[110:111], v[124:125], v[92:93]
	;; [unrolled: 1-line block ×5, first 2 shown]
	v_add_f64 v[122:123], v[122:123], -v[86:87]
	v_add_f64 v[124:125], v[124:125], -v[92:93]
	v_add_f64 v[86:87], v[154:155], v[164:165]
	v_add_f64 v[120:121], v[156:157], -v[104:105]
	v_add_f64 v[88:89], v[162:163], -v[90:91]
	;; [unrolled: 1-line block ×4, first 2 shown]
	v_fma_f64 v[154:155], s[8:9], v[42:43], v[44:45]
	v_add_f64 v[160:161], v[40:41], -v[28:29]
	v_add_f64 v[156:157], v[34:35], -v[38:39]
	;; [unrolled: 1-line block ×3, first 2 shown]
	v_fmac_f64_e32 v[44:45], s[6:7], v[42:43]
	v_add_f64 v[48:49], v[158:159], v[168:169]
	v_add_f64 v[90:91], v[158:159], -v[168:169]
	v_add_f64 v[158:159], v[34:35], v[2:3]
	v_fmac_f64_e32 v[154:155], s[10:11], v[160:161]
	v_add_f64 v[156:157], v[162:163], v[156:157]
	v_fmac_f64_e32 v[44:45], s[2:3], v[160:161]
	v_add_f64 v[162:163], v[38:39], -v[34:35]
	v_add_f64 v[164:165], v[26:27], -v[30:31]
	v_fmac_f64_e32 v[154:155], s[0:1], v[156:157]
	v_fmac_f64_e32 v[44:45], s[0:1], v[156:157]
	v_add_f64 v[156:157], v[30:31], v[34:35]
	v_add_f64 v[162:163], v[164:165], v[162:163]
	v_add_f64 v[164:165], v[38:39], -v[26:27]
	v_add_f64 v[38:39], v[38:39], v[158:159]
	v_add_f64 v[158:159], v[36:37], v[4:5]
	v_fmac_f64_e32 v[2:3], -0.5, v[156:157]
	v_add_f64 v[158:159], v[40:41], v[158:159]
	v_add_f64 v[26:27], v[26:27], v[38:39]
	v_fma_f64 v[156:157], s[6:7], v[160:161], v[2:3]
	v_fmac_f64_e32 v[2:3], s[8:9], v[160:161]
	v_add_f64 v[38:39], v[30:31], v[26:27]
	v_add_f64 v[26:27], v[28:29], v[158:159]
	v_fmac_f64_e32 v[156:157], s[10:11], v[42:43]
	v_fmac_f64_e32 v[2:3], s[2:3], v[42:43]
	v_add_f64 v[42:43], v[28:29], v[40:41]
	v_add_f64 v[160:161], v[34:35], -v[30:31]
	v_add_f64 v[30:31], v[32:33], v[26:27]
	v_add_f64 v[26:27], v[32:33], v[36:37]
	v_fma_f64 v[42:43], -0.5, v[42:43], v[4:5]
	v_fmac_f64_e32 v[4:5], -0.5, v[26:27]
	v_fmac_f64_e32 v[156:157], s[0:1], v[162:163]
	v_fmac_f64_e32 v[2:3], s[0:1], v[162:163]
	v_add_f64 v[34:35], v[36:37], -v[40:41]
	v_add_f64 v[162:163], v[32:33], -v[28:29]
	;; [unrolled: 1-line block ×3, first 2 shown]
	v_fma_f64 v[26:27], s[8:9], v[164:165], v[4:5]
	v_add_f64 v[28:29], v[28:29], -v[32:33]
	v_fmac_f64_e32 v[4:5], s[6:7], v[164:165]
	v_fmac_f64_e32 v[26:27], s[2:3], v[160:161]
	v_add_f64 v[28:29], v[28:29], v[40:41]
	v_fmac_f64_e32 v[4:5], s[10:11], v[160:161]
	v_add_f64 v[162:163], v[162:163], v[34:35]
	v_fma_f64 v[34:35], s[6:7], v[160:161], v[42:43]
	v_fmac_f64_e32 v[42:43], s[8:9], v[160:161]
	v_fmac_f64_e32 v[26:27], s[0:1], v[28:29]
	;; [unrolled: 1-line block ×3, first 2 shown]
	v_add_f64 v[28:29], v[10:11], v[22:23]
	v_fmac_f64_e32 v[34:35], s[2:3], v[164:165]
	v_fmac_f64_e32 v[42:43], s[10:11], v[164:165]
	v_fma_f64 v[28:29], -0.5, v[28:29], v[6:7]
	s_waitcnt vmcnt(0)
	v_add_f64 v[40:41], v[20:21], -v[16:17]
	v_fmac_f64_e32 v[34:35], s[0:1], v[162:163]
	v_fmac_f64_e32 v[42:43], s[0:1], v[162:163]
	v_fma_f64 v[158:159], s[8:9], v[40:41], v[28:29]
	v_add_f64 v[160:161], v[24:25], -v[12:13]
	v_add_f64 v[32:33], v[18:19], -v[22:23]
	;; [unrolled: 1-line block ×3, first 2 shown]
	v_fmac_f64_e32 v[28:29], s[6:7], v[40:41]
	v_add_f64 v[36:37], v[18:19], v[6:7]
	v_fmac_f64_e32 v[158:159], s[10:11], v[160:161]
	v_add_f64 v[32:33], v[162:163], v[32:33]
	v_fmac_f64_e32 v[28:29], s[2:3], v[160:161]
	v_add_f64 v[162:163], v[22:23], -v[18:19]
	v_add_f64 v[164:165], v[10:11], -v[14:15]
	v_fmac_f64_e32 v[158:159], s[0:1], v[32:33]
	v_fmac_f64_e32 v[28:29], s[0:1], v[32:33]
	v_add_f64 v[32:33], v[14:15], v[18:19]
	v_add_f64 v[162:163], v[164:165], v[162:163]
	v_add_f64 v[164:165], v[22:23], -v[10:11]
	v_add_f64 v[22:23], v[22:23], v[36:37]
	v_add_f64 v[36:37], v[20:21], v[8:9]
	v_fmac_f64_e32 v[6:7], -0.5, v[32:33]
	v_add_f64 v[36:37], v[24:25], v[36:37]
	v_add_f64 v[10:11], v[10:11], v[22:23]
	v_fma_f64 v[32:33], s[6:7], v[160:161], v[6:7]
	v_fmac_f64_e32 v[6:7], s[8:9], v[160:161]
	v_add_f64 v[22:23], v[14:15], v[10:11]
	v_add_f64 v[10:11], v[12:13], v[36:37]
	v_fmac_f64_e32 v[32:33], s[10:11], v[40:41]
	v_fmac_f64_e32 v[6:7], s[2:3], v[40:41]
	v_add_f64 v[40:41], v[12:13], v[24:25]
	v_add_f64 v[36:37], v[16:17], v[10:11]
	;; [unrolled: 1-line block ×3, first 2 shown]
	v_fma_f64 v[40:41], -0.5, v[40:41], v[8:9]
	v_fmac_f64_e32 v[8:9], -0.5, v[10:11]
	v_fmac_f64_e32 v[32:33], s[0:1], v[162:163]
	v_fmac_f64_e32 v[6:7], s[0:1], v[162:163]
	v_add_f64 v[18:19], v[18:19], -v[14:15]
	v_add_f64 v[160:161], v[20:21], -v[24:25]
	;; [unrolled: 1-line block ×4, first 2 shown]
	v_fma_f64 v[20:21], s[8:9], v[164:165], v[8:9]
	v_add_f64 v[10:11], v[12:13], -v[16:17]
	v_fmac_f64_e32 v[8:9], s[6:7], v[164:165]
	v_add_f64 v[160:161], v[162:163], v[160:161]
	v_fma_f64 v[162:163], s[6:7], v[18:19], v[40:41]
	v_fmac_f64_e32 v[40:41], s[8:9], v[18:19]
	v_add_f64 v[10:11], v[10:11], v[24:25]
	v_fmac_f64_e32 v[8:9], s[10:11], v[18:19]
	v_fmac_f64_e32 v[40:41], s[10:11], v[164:165]
	;; [unrolled: 1-line block ×3, first 2 shown]
	v_mul_f64 v[16:17], v[6:7], s[0:1]
	v_fmac_f64_e32 v[40:41], s[0:1], v[160:161]
	v_fmac_f64_e32 v[20:21], s[2:3], v[18:19]
	v_fma_f64 v[168:169], v[8:9], s[8:9], -v[16:17]
	v_mul_f64 v[8:9], v[8:9], s[0:1]
	v_fmac_f64_e32 v[162:163], s[2:3], v[164:165]
	v_fmac_f64_e32 v[20:21], s[0:1], v[10:11]
	v_mul_f64 v[24:25], v[32:33], s[0:1]
	v_fma_f64 v[174:175], v[6:7], s[6:7], -v[8:9]
	v_mul_f64 v[8:9], v[40:41], s[12:13]
	v_fmac_f64_e32 v[162:163], s[0:1], v[160:161]
	v_add_f64 v[10:11], v[22:23], v[38:39]
	v_fmac_f64_e32 v[24:25], s[8:9], v[20:21]
	v_add_f64 v[16:17], v[2:3], v[168:169]
	v_mul_f64 v[160:161], v[28:29], s[12:13]
	v_mul_f64 v[32:33], v[32:33], s[6:7]
	v_fma_f64 v[28:29], v[28:29], s[2:3], -v[8:9]
	v_add_f64 v[8:9], v[38:39], -v[22:23]
	v_add_f64 v[22:23], v[2:3], -v[168:169]
	v_mul_u32_u24_e32 v2, 10, v0
	v_mul_f64 v[18:19], v[158:159], s[12:13]
	v_add_f64 v[14:15], v[156:157], v[24:25]
	v_fmac_f64_e32 v[32:33], s[0:1], v[20:21]
	v_add_f64 v[20:21], v[156:157], -v[24:25]
	v_lshl_add_u32 v156, v2, 3, 0
	v_mul_i32_i24_e32 v2, 10, v140
	v_fmac_f64_e32 v[18:19], s[10:11], v[162:163]
	v_fma_f64 v[170:171], v[40:41], s[10:11], -v[160:161]
	v_mul_f64 v[172:173], v[158:159], s[2:3]
	v_lshl_add_u32 v129, v2, 3, 0
	v_mul_i32_i24_e32 v2, 10, v138
	s_movk_i32 s0, 0xffb8
	v_add_f64 v[12:13], v[154:155], v[18:19]
	v_fmac_f64_e32 v[172:173], s[12:13], v[162:163]
	v_add_f64 v[6:7], v[44:45], v[170:171]
	v_add_f64 v[18:19], v[154:155], -v[18:19]
	v_add_f64 v[24:25], v[44:45], -v[170:171]
	v_lshl_add_u32 v186, v2, 3, 0
	v_mad_i32_i24 v187, v0, s0, v156
	v_lshl_add_u32 v188, v144, 3, 0
	v_mad_i32_i24 v192, v140, s0, v129
	v_add_f64 v[158:159], v[36:37], v[30:31]
	v_add_f64 v[160:161], v[34:35], v[172:173]
	;; [unrolled: 1-line block ×5, first 2 shown]
	v_add_f64 v[168:169], v[30:31], -v[36:37]
	v_add_f64 v[170:171], v[34:35], -v[172:173]
	;; [unrolled: 1-line block ×5, first 2 shown]
	ds_write_b128 v156, v[70:73]
	ds_write_b128 v156, v[74:77] offset:16
	ds_write_b128 v156, v[78:81] offset:32
	ds_write_b128 v156, v[98:101] offset:48
	ds_write_b128 v156, v[94:97] offset:64
	ds_write_b128 v129, v[106:109]
	ds_write_b128 v129, v[110:113] offset:16
	ds_write_b128 v129, v[114:117] offset:32
	ds_write_b128 v129, v[122:125] offset:48
	ds_write_b128 v129, v[118:121] offset:64
	;; [unrolled: 5-line block ×3, first 2 shown]
	s_waitcnt lgkmcnt(0)
	s_barrier
	ds_read2st64_b64 v[2:5], v187 offset1:12
	v_lshl_add_u32 v191, v136, 3, 0
	ds_read2st64_b64 v[14:17], v187 offset0:28 offset1:30
	ds_read2st64_b64 v[70:73], v187 offset0:40 offset1:42
	;; [unrolled: 1-line block ×6, first 2 shown]
	v_mad_i32_i24 v143, v138, s0, v186
	ds_read_b64 v[100:101], v192
	ds_read_b64 v[98:99], v143
	ds_read2st64_b64 v[34:37], v187 offset0:14 offset1:16
	ds_read2st64_b64 v[30:33], v187 offset0:24 offset1:26
	;; [unrolled: 1-line block ×3, first 2 shown]
	v_lshl_add_u32 v189, v147, 3, 0
	ds_read2st64_b64 v[18:21], v187 offset0:36 offset1:38
	ds_read2st64_b64 v[10:13], v187 offset0:56 offset1:58
	v_lshl_add_u32 v190, v146, 3, 0
	ds_read_b64 v[154:155], v188
	ds_read_b64 v[124:125], v191
	ds_read_b64 v[96:97], v189
	ds_read_b64 v[94:95], v190
	s_waitcnt lgkmcnt(0)
	s_barrier
	ds_write_b128 v156, v[50:53]
	ds_write_b128 v156, v[54:57] offset:16
	ds_write_b128 v156, v[58:61] offset:32
	ds_write_b128 v156, v[62:65] offset:48
	ds_write_b128 v156, v[66:69] offset:64
	ds_write_b128 v129, v[46:49]
	ds_write_b128 v129, v[82:85] offset:16
	ds_write_b128 v129, v[86:89] offset:32
	ds_write_b128 v129, v[90:93] offset:48
	ds_write_b128 v129, v[102:105] offset:64
	;; [unrolled: 5-line block ×3, first 2 shown]
	v_mul_lo_u16_e32 v46, 0x67, v0
	v_lshrrev_b16_e32 v170, 10, v46
	s_movk_i32 s0, 0xcd
	v_mul_lo_u16_e32 v46, 10, v170
	v_mul_lo_u16_sdwa v51, v140, s0 dst_sel:DWORD dst_unused:UNUSED_PAD src0_sel:BYTE_0 src1_sel:DWORD
	v_sub_u16_e32 v171, v0, v46
	v_mov_b32_e32 v50, 5
	v_lshrrev_b16_e32 v180, 11, v51
	v_mul_u32_u24_sdwa v46, v171, v50 dst_sel:DWORD dst_unused:UNUSED_PAD src0_sel:BYTE_0 src1_sel:DWORD
	v_mul_lo_u16_e32 v51, 10, v180
	v_lshlrev_b32_e32 v102, 4, v46
	v_sub_u16_e32 v181, v140, v51
	s_waitcnt lgkmcnt(0)
	s_barrier
	global_load_dwordx4 v[46:49], v102, s[4:5] offset:48
	v_mul_u32_u24_sdwa v50, v181, v50 dst_sel:DWORD dst_unused:UNUSED_PAD src0_sel:BYTE_0 src1_sel:DWORD
	v_lshlrev_b32_e32 v103, 4, v50
	s_mov_b32 s0, 0xcccd
	global_load_dwordx4 v[54:57], v103, s[4:5] offset:48
	global_load_dwordx4 v[50:53], v103, s[4:5] offset:32
	v_mul_u32_u24_sdwa v58, v138, s0 dst_sel:DWORD dst_unused:UNUSED_PAD src0_sel:WORD_0 src1_sel:DWORD
	v_lshrrev_b32_e32 v182, 19, v58
	v_mul_lo_u16_e32 v58, 10, v182
	v_sub_u16_e32 v183, v138, v58
	v_mul_u32_u24_e32 v58, 5, v183
	v_lshlrev_b32_e32 v66, 4, v58
	global_load_dwordx4 v[62:65], v66, s[4:5] offset:32
	global_load_dwordx4 v[58:61], v103, s[4:5] offset:64
	global_load_dwordx4 v[82:85], v66, s[4:5] offset:64
	global_load_dwordx4 v[78:81], v66, s[4:5]
	global_load_dwordx4 v[74:77], v66, s[4:5] offset:16
	s_nop 0
	global_load_dwordx4 v[66:69], v66, s[4:5] offset:48
	v_mul_u32_u24_sdwa v86, v147, s0 dst_sel:DWORD dst_unused:UNUSED_PAD src0_sel:WORD_0 src1_sel:DWORD
	v_lshrrev_b32_e32 v194, 19, v86
	v_mul_lo_u16_e32 v86, 10, v194
	v_sub_u16_e32 v193, v147, v86
	v_mul_u32_u24_e32 v86, 5, v193
	v_lshlrev_b32_e32 v166, 4, v86
	global_load_dwordx4 v[86:89], v166, s[4:5]
	global_load_dwordx4 v[90:93], v166, s[4:5] offset:16
	global_load_dwordx4 v[108:111], v166, s[4:5] offset:48
	;; [unrolled: 1-line block ×3, first 2 shown]
	v_mul_u32_u24_sdwa v104, v146, s0 dst_sel:DWORD dst_unused:UNUSED_PAD src0_sel:WORD_0 src1_sel:DWORD
	v_lshrrev_b32_e32 v196, 19, v104
	v_mul_lo_u16_e32 v104, 10, v196
	v_sub_u16_e32 v195, v146, v104
	v_mul_u32_u24_e32 v104, 5, v195
	v_lshlrev_b32_e32 v167, 4, v104
	global_load_dwordx4 v[116:119], v167, s[4:5]
	global_load_dwordx4 v[156:159], v102, s[4:5] offset:32
	global_load_dwordx4 v[172:175], v167, s[4:5] offset:16
	;; [unrolled: 1-line block ×5, first 2 shown]
	ds_read2st64_b64 v[104:107], v187 offset0:40 offset1:42
	global_load_dwordx4 v[202:205], v102, s[4:5] offset:64
	ds_read2st64_b64 v[120:123], v187 offset0:32 offset1:34
	ds_read2st64_b64 v[206:209], v187 offset0:52 offset1:54
	global_load_dwordx4 v[210:213], v167, s[4:5] offset:48
	global_load_dwordx4 v[218:221], v167, s[4:5] offset:64
	global_load_dwordx4 v[222:225], v102, s[4:5]
	s_mov_b32 s0, 0xe8584caa
	s_mov_b32 s1, 0x3febb67a
	;; [unrolled: 1-line block ×5, first 2 shown]
	s_movk_i32 s6, 0x1e0
	v_lshl_add_u32 v197, v137, 3, 0
	s_waitcnt vmcnt(22) lgkmcnt(2)
	v_mul_f64 v[160:161], v[104:105], v[48:49]
	v_mul_f64 v[162:163], v[70:71], v[48:49]
	v_fma_f64 v[168:169], v[70:71], v[46:47], -v[160:161]
	v_fmac_f64_e32 v[162:163], v[104:105], v[46:47]
	s_waitcnt vmcnt(21)
	v_mul_f64 v[46:47], v[106:107], v[56:57]
	v_mul_f64 v[48:49], v[72:73], v[56:57]
	v_fma_f64 v[46:47], v[72:73], v[54:55], -v[46:47]
	v_fmac_f64_e32 v[48:49], v[106:107], v[54:55]
	s_waitcnt vmcnt(20) lgkmcnt(1)
	v_mul_f64 v[54:55], v[120:121], v[52:53]
	v_fma_f64 v[72:73], v[42:43], v[50:51], -v[54:55]
	v_mul_f64 v[164:165], v[42:43], v[52:53]
	s_waitcnt vmcnt(19)
	v_mul_f64 v[42:43], v[122:123], v[64:65]
	v_fma_f64 v[70:71], v[44:45], v[62:63], -v[42:43]
	v_mul_f64 v[64:65], v[44:45], v[64:65]
	ds_read2st64_b64 v[42:45], v187 offset0:14 offset1:16
	v_fmac_f64_e32 v[164:165], v[120:121], v[50:51]
	s_waitcnt vmcnt(18) lgkmcnt(1)
	v_mul_f64 v[50:51], v[206:207], v[60:61]
	v_fma_f64 v[166:167], v[38:39], v[58:59], -v[50:51]
	s_waitcnt vmcnt(17)
	v_mul_f64 v[50:51], v[208:209], v[84:85]
	v_fmac_f64_e32 v[64:65], v[122:123], v[62:63]
	v_mul_f64 v[38:39], v[38:39], v[60:61]
	v_fma_f64 v[62:63], v[40:41], v[82:83], -v[50:51]
	v_mul_f64 v[40:41], v[40:41], v[84:85]
	v_fmac_f64_e32 v[38:39], v[206:207], v[58:59]
	v_fmac_f64_e32 v[40:41], v[208:209], v[82:83]
	global_load_dwordx4 v[206:209], v102, s[4:5] offset:16
	s_waitcnt vmcnt(17) lgkmcnt(0)
	v_mul_f64 v[50:51], v[42:43], v[80:81]
	v_mul_f64 v[52:53], v[34:35], v[80:81]
	global_load_dwordx4 v[80:83], v103, s[4:5]
	ds_read2st64_b64 v[120:123], v187 offset0:24 offset1:26
	ds_read2st64_b64 v[58:61], v187 offset0:44 offset1:46
	v_fma_f64 v[50:51], v[34:35], v[78:79], -v[50:51]
	s_waitcnt vmcnt(17)
	v_mul_f64 v[102:103], v[30:31], v[76:77]
	s_waitcnt vmcnt(16)
	v_mul_f64 v[106:107], v[26:27], v[68:69]
	s_waitcnt lgkmcnt(1)
	v_mul_f64 v[34:35], v[120:121], v[76:77]
	v_fma_f64 v[84:85], v[30:31], v[74:75], -v[34:35]
	s_waitcnt lgkmcnt(0)
	v_mul_f64 v[30:31], v[58:59], v[68:69]
	v_fma_f64 v[104:105], v[26:27], v[66:67], -v[30:31]
	s_waitcnt vmcnt(15)
	v_mul_f64 v[26:27], v[44:45], v[88:89]
	v_fma_f64 v[34:35], v[36:37], v[86:87], -v[26:27]
	s_waitcnt vmcnt(14)
	v_mul_f64 v[26:27], v[122:123], v[92:93]
	v_fma_f64 v[54:55], v[32:33], v[90:91], -v[26:27]
	v_mul_f64 v[56:57], v[32:33], v[92:93]
	ds_read2st64_b64 v[30:33], v187 offset0:18 offset1:22
	s_waitcnt vmcnt(13)
	v_mul_f64 v[26:27], v[60:61], v[110:111]
	v_fmac_f64_e32 v[106:107], v[58:59], v[66:67]
	v_fma_f64 v[58:59], v[28:29], v[108:109], -v[26:27]
	v_fmac_f64_e32 v[102:103], v[120:121], v[74:75]
	s_waitcnt vmcnt(12) lgkmcnt(0)
	v_mul_f64 v[26:27], v[32:33], v[114:115]
	v_fmac_f64_e32 v[56:57], v[122:123], v[90:91]
	v_fma_f64 v[120:121], v[24:25], v[112:113], -v[26:27]
	v_mul_f64 v[122:123], v[24:25], v[114:115]
	ds_read2st64_b64 v[24:27], v187 offset0:28 offset1:30
	v_fmac_f64_e32 v[52:53], v[42:43], v[78:79]
	v_mul_f64 v[42:43], v[36:37], v[88:89]
	v_fmac_f64_e32 v[42:43], v[44:45], v[86:87]
	v_mul_f64 v[86:87], v[28:29], v[110:111]
	s_waitcnt vmcnt(11)
	v_mul_f64 v[28:29], v[30:31], v[118:119]
	s_waitcnt vmcnt(10)
	v_mul_f64 v[68:69], v[16:17], v[158:159]
	v_fma_f64 v[36:37], v[22:23], v[116:117], -v[28:29]
	v_mul_f64 v[44:45], v[22:23], v[118:119]
	s_waitcnt lgkmcnt(0)
	v_mul_f64 v[22:23], v[26:27], v[158:159]
	v_fmac_f64_e32 v[68:69], v[26:27], v[156:157]
	ds_read2st64_b64 v[26:29], v187 offset0:36 offset1:38
	v_fma_f64 v[66:67], v[16:17], v[156:157], -v[22:23]
	s_waitcnt vmcnt(9)
	v_mul_f64 v[16:17], v[24:25], v[174:175]
	v_fmac_f64_e32 v[86:87], v[60:61], v[108:109]
	v_fma_f64 v[60:61], v[14:15], v[172:173], -v[16:17]
	v_mul_f64 v[88:89], v[14:15], v[174:175]
	s_waitcnt vmcnt(7) lgkmcnt(0)
	v_mul_f64 v[14:15], v[26:27], v[178:179]
	v_fma_f64 v[22:23], v[18:19], v[176:177], -v[14:15]
	v_mul_f64 v[18:19], v[18:19], v[178:179]
	v_fmac_f64_e32 v[88:89], v[24:25], v[172:173]
	v_fmac_f64_e32 v[18:19], v[26:27], v[176:177]
	ds_read2st64_b64 v[24:27], v187 offset0:48 offset1:50
	v_mul_f64 v[14:15], v[28:29], v[200:201]
	v_fma_f64 v[14:15], v[20:21], v[198:199], -v[14:15]
	v_mul_f64 v[16:17], v[20:21], v[200:201]
	v_fmac_f64_e32 v[16:17], v[28:29], v[198:199]
	s_waitcnt vmcnt(5) lgkmcnt(0)
	v_mul_f64 v[20:21], v[26:27], v[204:205]
	v_fma_f64 v[74:75], v[8:9], v[202:203], -v[20:21]
	v_mul_f64 v[20:21], v[8:9], v[204:205]
	v_fmac_f64_e32 v[20:21], v[26:27], v[202:203]
	ds_read2st64_b64 v[26:29], v187 offset0:56 offset1:58
	s_waitcnt vmcnt(4)
	v_mul_f64 v[8:9], v[24:25], v[212:213]
	v_fmac_f64_e32 v[122:123], v[32:33], v[112:113]
	v_fma_f64 v[108:109], v[6:7], v[210:211], -v[8:9]
	v_mul_f64 v[112:113], v[6:7], v[212:213]
	s_waitcnt lgkmcnt(0)
	v_mul_f64 v[6:7], v[26:27], v[216:217]
	v_fma_f64 v[8:9], v[10:11], v[214:215], -v[6:7]
	v_mul_f64 v[118:119], v[10:11], v[216:217]
	s_waitcnt vmcnt(3)
	v_mul_f64 v[6:7], v[28:29], v[220:221]
	ds_read_b64 v[10:11], v188
	v_fmac_f64_e32 v[44:45], v[30:31], v[116:117]
	v_fma_f64 v[6:7], v[12:13], v[218:219], -v[6:7]
	v_mul_f64 v[114:115], v[12:13], v[220:221]
	ds_read_b64 v[12:13], v191
	ds_read_b64 v[116:117], v189
	;; [unrolled: 1-line block ×3, first 2 shown]
	ds_read2st64_b64 v[30:33], v187 offset1:12
	s_waitcnt vmcnt(2)
	v_mul_f64 v[78:79], v[154:155], v[224:225]
	v_fmac_f64_e32 v[112:113], v[24:25], v[210:211]
	s_waitcnt lgkmcnt(4)
	v_mul_f64 v[24:25], v[10:11], v[224:225]
	v_fmac_f64_e32 v[78:79], v[10:11], v[222:223]
	v_fma_f64 v[76:77], v[154:155], v[222:223], -v[24:25]
	v_add_f64 v[24:25], v[68:69], v[20:21]
	v_fmac_f64_e32 v[118:119], v[26:27], v[214:215]
	s_waitcnt vmcnt(1) lgkmcnt(3)
	v_mul_f64 v[10:11], v[12:13], v[208:209]
	v_fma_f64 v[90:91], v[124:125], v[206:207], -v[10:11]
	v_mul_f64 v[92:93], v[124:125], v[208:209]
	s_waitcnt vmcnt(0) lgkmcnt(0)
	v_mul_f64 v[10:11], v[32:33], v[82:83]
	v_fmac_f64_e32 v[92:93], v[12:13], v[206:207]
	v_fma_f64 v[154:155], v[4:5], v[80:81], -v[10:11]
	v_mul_f64 v[156:157], v[4:5], v[82:83]
	v_add_f64 v[4:5], v[90:91], v[168:169]
	v_fmac_f64_e32 v[156:157], v[32:33], v[80:81]
	v_add_f64 v[32:33], v[2:3], v[90:91]
	v_fmac_f64_e32 v[2:3], -0.5, v[4:5]
	v_add_f64 v[10:11], v[92:93], -v[162:163]
	v_fma_f64 v[4:5], s[0:1], v[10:11], v[2:3]
	v_fmac_f64_e32 v[2:3], s[2:3], v[10:11]
	v_add_f64 v[10:11], v[66:67], v[74:75]
	v_add_f64 v[80:81], v[76:77], v[66:67]
	v_fmac_f64_e32 v[76:77], -0.5, v[10:11]
	v_add_f64 v[12:13], v[68:69], -v[20:21]
	v_fma_f64 v[10:11], s[0:1], v[12:13], v[76:77]
	v_fmac_f64_e32 v[76:77], s[2:3], v[12:13]
	v_add_f64 v[12:13], v[78:79], v[68:69]
	v_fmac_f64_e32 v[78:79], -0.5, v[24:25]
	v_add_f64 v[26:27], v[66:67], -v[74:75]
	v_fmac_f64_e32 v[114:115], v[28:29], v[218:219]
	v_fma_f64 v[24:25], s[2:3], v[26:27], v[78:79]
	v_fmac_f64_e32 v[78:79], s[0:1], v[26:27]
	v_mul_f64 v[28:29], v[76:77], -0.5
	v_fmac_f64_e32 v[28:29], s[0:1], v[78:79]
	v_add_f64 v[66:67], v[92:93], v[162:163]
	v_add_f64 v[26:27], v[2:3], v[28:29]
	v_add_f64 v[2:3], v[2:3], -v[28:29]
	v_add_f64 v[28:29], v[30:31], v[92:93]
	v_fmac_f64_e32 v[30:31], -0.5, v[66:67]
	v_add_f64 v[66:67], v[90:91], -v[168:169]
	v_fma_f64 v[158:159], s[2:3], v[66:67], v[30:31]
	v_fmac_f64_e32 v[30:31], s[0:1], v[66:67]
	v_mul_f64 v[66:67], v[78:79], -0.5
	v_fmac_f64_e32 v[66:67], s[2:3], v[76:77]
	v_mov_b32_e32 v201, 3
	v_add_f64 v[160:161], v[30:31], v[66:67]
	v_add_f64 v[124:125], v[30:31], -v[66:67]
	v_mul_u32_u24_e32 v66, 0x1e0, v170
	v_lshlrev_b32_sdwa v67, v201, v171 dst_sel:DWORD dst_unused:UNUSED_PAD src0_sel:DWORD src1_sel:BYTE_0
	v_add3_u32 v202, 0, v66, v67
	v_mul_f64 v[66:67], v[24:25], s[0:1]
	v_fmac_f64_e32 v[66:67], 0.5, v[10:11]
	v_add_f64 v[30:31], v[32:33], v[168:169]
	v_add_f64 v[32:33], v[80:81], v[74:75]
	;; [unrolled: 1-line block ×3, first 2 shown]
	v_add_f64 v[4:5], v[4:5], -v[66:67]
	ds_read_b64 v[170:171], v192
	ds_read_b64 v[168:169], v143
	s_waitcnt lgkmcnt(0)
	s_barrier
	ds_write2_b64 v202, v[4:5], v[2:3] offset0:40 offset1:50
	v_add_f64 v[4:5], v[72:73], v[166:167]
	v_mul_f64 v[172:173], v[10:11], s[2:3]
	v_add_f64 v[10:11], v[30:31], -v[32:33]
	v_add_f64 v[2:3], v[154:155], v[72:73]
	v_fmac_f64_e32 v[154:155], -0.5, v[4:5]
	v_add_f64 v[4:5], v[164:165], -v[38:39]
	ds_write2_b64 v202, v[26:27], v[10:11] offset0:20 offset1:30
	v_add_f64 v[10:11], v[100:101], v[120:121]
	v_fma_f64 v[176:177], s[0:1], v[4:5], v[154:155]
	v_fmac_f64_e32 v[154:155], s[2:3], v[4:5]
	v_add_f64 v[4:5], v[164:165], v[38:39]
	v_add_f64 v[178:179], v[156:157], v[164:165]
	v_fmac_f64_e32 v[156:157], -0.5, v[4:5]
	v_add_f64 v[4:5], v[10:11], v[46:47]
	v_add_f64 v[10:11], v[72:73], -v[166:167]
	v_add_f64 v[174:175], v[12:13], v[20:21]
	v_add_f64 v[12:13], v[120:121], v[46:47]
	;; [unrolled: 1-line block ×3, first 2 shown]
	v_fma_f64 v[164:165], s[2:3], v[10:11], v[156:157]
	v_fmac_f64_e32 v[100:101], -0.5, v[12:13]
	v_add_f64 v[12:13], v[122:123], -v[48:49]
	v_fmac_f64_e32 v[156:157], s[0:1], v[10:11]
	v_add_f64 v[10:11], v[4:5], v[2:3]
	v_add_f64 v[2:3], v[4:5], -v[2:3]
	v_mul_f64 v[4:5], v[164:165], s[0:1]
	v_fma_f64 v[20:21], s[0:1], v[12:13], v[100:101]
	v_fmac_f64_e32 v[4:5], 0.5, v[176:177]
	v_mul_u32_u24_e32 v26, 0x1e0, v180
	v_lshlrev_b32_sdwa v27, v201, v181 dst_sel:DWORD dst_unused:UNUSED_PAD src0_sel:DWORD src1_sel:BYTE_0
	v_add_f64 v[68:69], v[30:31], v[32:33]
	v_fmac_f64_e32 v[100:101], s[2:3], v[12:13]
	v_add_f64 v[12:13], v[20:21], v[4:5]
	v_add3_u32 v203, 0, v26, v27
	ds_write2_b64 v202, v[68:69], v[74:75] offset1:10
	v_add_f64 v[4:5], v[20:21], -v[4:5]
	v_mul_f64 v[20:21], v[154:155], -0.5
	ds_write2_b64 v203, v[10:11], v[12:13] offset1:10
	v_add_f64 v[12:13], v[84:85], v[104:105]
	v_fmac_f64_e32 v[20:21], s[0:1], v[156:157]
	v_add_f64 v[10:11], v[98:99], v[84:85]
	v_fmac_f64_e32 v[98:99], -0.5, v[12:13]
	v_add_f64 v[12:13], v[102:103], -v[106:107]
	v_fmac_f64_e32 v[172:173], 0.5, v[24:25]
	v_add_f64 v[24:25], v[100:101], v[20:21]
	v_fma_f64 v[26:27], s[0:1], v[12:13], v[98:99]
	v_fmac_f64_e32 v[98:99], s[2:3], v[12:13]
	v_add_f64 v[12:13], v[70:71], v[62:63]
	ds_write2_b64 v203, v[24:25], v[2:3] offset0:20 offset1:30
	v_add_f64 v[2:3], v[50:51], v[70:71]
	v_fmac_f64_e32 v[50:51], -0.5, v[12:13]
	v_add_f64 v[12:13], v[64:65], -v[40:41]
	v_add_f64 v[20:21], v[100:101], -v[20:21]
	v_fma_f64 v[100:101], s[0:1], v[12:13], v[50:51]
	v_fmac_f64_e32 v[50:51], s[2:3], v[12:13]
	v_add_f64 v[12:13], v[64:65], v[40:41]
	v_add_f64 v[166:167], v[52:53], v[64:65]
	v_fmac_f64_e32 v[52:53], -0.5, v[12:13]
	v_add_f64 v[12:13], v[70:71], -v[62:63]
	v_fma_f64 v[180:181], s[2:3], v[12:13], v[52:53]
	ds_write2_b64 v203, v[4:5], v[20:21] offset0:40 offset1:50
	v_mul_f64 v[4:5], v[180:181], s[0:1]
	v_add_f64 v[162:163], v[28:29], v[162:163]
	v_fmac_f64_e32 v[4:5], 0.5, v[100:101]
	v_add_f64 v[28:29], v[54:55], v[58:59]
	v_add_f64 v[10:11], v[10:11], v[104:105]
	;; [unrolled: 1-line block ×4, first 2 shown]
	v_add_f64 v[4:5], v[26:27], -v[4:5]
	v_add_f64 v[26:27], v[96:97], v[54:55]
	v_fmac_f64_e32 v[96:97], -0.5, v[28:29]
	v_mul_u32_u24_e32 v28, 0x1e0, v182
	v_lshlrev_b32_e32 v29, 3, v183
	v_fmac_f64_e32 v[52:53], s[0:1], v[12:13]
	v_add_f64 v[12:13], v[10:11], v[2:3]
	v_add_f64 v[2:3], v[10:11], -v[2:3]
	v_mul_f64 v[10:11], v[50:51], -0.5
	v_add3_u32 v212, 0, v28, v29
	v_fmac_f64_e32 v[10:11], s[0:1], v[52:53]
	ds_write2_b64 v212, v[12:13], v[20:21] offset1:10
	v_add_f64 v[12:13], v[56:57], -v[86:87]
	v_add_f64 v[28:29], v[22:23], v[8:9]
	v_add_f64 v[24:25], v[98:99], v[10:11]
	v_add_f64 v[10:11], v[98:99], -v[10:11]
	v_fma_f64 v[20:21], s[0:1], v[12:13], v[96:97]
	v_fmac_f64_e32 v[96:97], s[2:3], v[12:13]
	v_add_f64 v[12:13], v[34:35], v[22:23]
	v_fmac_f64_e32 v[34:35], -0.5, v[28:29]
	v_add_f64 v[28:29], v[18:19], -v[118:119]
	v_add_f64 v[182:183], v[42:43], v[18:19]
	v_add_f64 v[18:19], v[18:19], v[118:119]
	v_fmac_f64_e32 v[42:43], -0.5, v[18:19]
	v_add_f64 v[12:13], v[12:13], v[8:9]
	v_add_f64 v[8:9], v[22:23], -v[8:9]
	ds_write2_b64 v212, v[4:5], v[10:11] offset0:40 offset1:50
	v_add_f64 v[10:11], v[60:61], v[108:109]
	v_fma_f64 v[184:185], s[2:3], v[8:9], v[42:43]
	v_fmac_f64_e32 v[42:43], s[0:1], v[8:9]
	v_add_f64 v[8:9], v[26:27], v[58:59]
	v_add_f64 v[4:5], v[94:95], v[60:61]
	v_fmac_f64_e32 v[94:95], -0.5, v[10:11]
	v_add_f64 v[10:11], v[88:89], -v[112:113]
	v_add_f64 v[26:27], v[14:15], v[6:7]
	ds_write2_b64 v212, v[24:25], v[2:3] offset0:20 offset1:30
	v_fma_f64 v[24:25], s[0:1], v[10:11], v[94:95]
	v_fmac_f64_e32 v[94:95], s[2:3], v[10:11]
	v_add_f64 v[10:11], v[36:37], v[14:15]
	v_fmac_f64_e32 v[36:37], -0.5, v[26:27]
	v_add_f64 v[26:27], v[16:17], -v[114:115]
	v_add_f64 v[204:205], v[44:45], v[16:17]
	v_add_f64 v[16:17], v[16:17], v[114:115]
	v_fma_f64 v[98:99], s[0:1], v[28:29], v[34:35]
	v_mul_f64 v[18:19], v[184:185], s[0:1]
	v_fmac_f64_e32 v[44:45], -0.5, v[16:17]
	v_add_f64 v[10:11], v[10:11], v[6:7]
	v_add_f64 v[6:7], v[14:15], -v[6:7]
	v_fmac_f64_e32 v[34:35], s[2:3], v[28:29]
	v_fmac_f64_e32 v[18:19], 0.5, v[98:99]
	v_fma_f64 v[206:207], s[2:3], v[6:7], v[44:45]
	v_fmac_f64_e32 v[44:45], s[0:1], v[6:7]
	v_perm_b32 v6, v194, v196, s7
	v_add_f64 v[2:3], v[8:9], v[12:13]
	v_add_f64 v[8:9], v[8:9], -v[12:13]
	v_add_f64 v[12:13], v[20:21], v[18:19]
	v_add_f64 v[18:19], v[20:21], -v[18:19]
	v_mul_f64 v[20:21], v[34:35], -0.5
	v_pk_mul_lo_u16 v16, v6, s6 op_sel_hi:[1,0]
	v_fmac_f64_e32 v[20:21], s[0:1], v[42:43]
	v_lshlrev_b32_e32 v6, 3, v193
	v_lshrrev_b32_e32 v7, 16, v16
	v_add_f64 v[22:23], v[96:97], v[20:21]
	v_add_f64 v[20:21], v[96:97], -v[20:21]
	v_fma_f64 v[96:97], s[0:1], v[26:27], v[36:37]
	v_fmac_f64_e32 v[36:37], s[2:3], v[26:27]
	v_add3_u32 v213, 0, v7, v6
	ds_write2_b64 v213, v[2:3], v[12:13] offset1:10
	v_mul_f64 v[6:7], v[206:207], s[0:1]
	v_mul_f64 v[12:13], v[36:37], -0.5
	v_add_f64 v[4:5], v[4:5], v[108:109]
	v_fmac_f64_e32 v[6:7], 0.5, v[96:97]
	v_fmac_f64_e32 v[12:13], s[0:1], v[44:45]
	ds_write2_b64 v213, v[22:23], v[8:9] offset0:20 offset1:30
	ds_write2_b64 v213, v[18:19], v[20:21] offset0:40 offset1:50
	v_and_b32_e32 v8, 0xffe0, v16
	v_lshlrev_b32_e32 v9, 3, v195
	v_add_f64 v[2:3], v[4:5], v[10:11]
	v_add_f64 v[4:5], v[4:5], -v[10:11]
	v_add_f64 v[10:11], v[24:25], v[6:7]
	v_add_f64 v[6:7], v[24:25], -v[6:7]
	v_add_f64 v[14:15], v[94:95], v[12:13]
	v_add_f64 v[12:13], v[94:95], -v[12:13]
	v_add3_u32 v214, 0, v8, v9
	v_lshl_add_u32 v193, v130, 3, 0
	v_add_f64 v[208:209], v[162:163], v[174:175]
	v_add_f64 v[162:163], v[162:163], -v[174:175]
	ds_write2_b64 v214, v[2:3], v[10:11] offset1:10
	ds_write2_b64 v214, v[14:15], v[4:5] offset0:20 offset1:30
	ds_write2_b64 v214, v[6:7], v[12:13] offset0:40 offset1:50
	s_waitcnt lgkmcnt(0)
	s_barrier
	ds_read_b64 v[90:91], v192
	ds_read_b64 v[80:81], v143
	;; [unrolled: 1-line block ×3, first 2 shown]
	v_lshl_add_u32 v194, v131, 3, 0
	v_lshl_add_u32 v195, v132, 3, 0
	;; [unrolled: 1-line block ×6, first 2 shown]
	ds_read_b64 v[82:83], v193
	ds_read_b64 v[78:79], v194
	;; [unrolled: 1-line block ×11, first 2 shown]
	ds_read2st64_b64 v[2:5], v187 offset1:30
	ds_read2st64_b64 v[30:33], v187 offset0:32 offset1:34
	ds_read2st64_b64 v[26:29], v187 offset0:36 offset1:38
	;; [unrolled: 1-line block ×7, first 2 shown]
	s_waitcnt lgkmcnt(0)
	s_barrier
	ds_write2_b64 v202, v[160:161], v[162:163] offset0:20 offset1:30
	v_add_f64 v[160:161], v[170:171], v[122:123]
	v_add_f64 v[46:47], v[120:121], -v[46:47]
	v_mul_f64 v[120:121], v[156:157], -0.5
	v_add_f64 v[156:157], v[168:169], v[102:103]
	v_add_f64 v[102:103], v[102:103], v[106:107]
	;; [unrolled: 1-line block ×4, first 2 shown]
	v_fmac_f64_e32 v[168:169], -0.5, v[102:103]
	v_add_f64 v[84:85], v[84:85], -v[104:105]
	v_add_f64 v[104:105], v[116:117], v[56:57]
	v_add_f64 v[56:57], v[56:57], v[86:87]
	v_add_f64 v[54:55], v[54:55], -v[58:59]
	v_mul_f64 v[58:59], v[98:99], s[2:3]
	v_add_f64 v[98:99], v[110:111], v[88:89]
	v_add_f64 v[88:89], v[88:89], v[112:113]
	v_fmac_f64_e32 v[170:171], -0.5, v[48:49]
	v_fma_f64 v[102:103], s[2:3], v[84:85], v[168:169]
	v_fmac_f64_e32 v[168:169], s[0:1], v[84:85]
	v_mul_f64 v[84:85], v[100:101], s[2:3]
	v_fmac_f64_e32 v[116:117], -0.5, v[56:57]
	v_fmac_f64_e32 v[110:111], -0.5, v[88:89]
	v_add_f64 v[60:61], v[60:61], -v[108:109]
	v_fma_f64 v[48:49], s[2:3], v[46:47], v[170:171]
	v_fmac_f64_e32 v[170:171], s[0:1], v[46:47]
	v_mul_f64 v[46:47], v[176:177], s[2:3]
	v_fmac_f64_e32 v[84:85], 0.5, v[180:181]
	v_mul_f64 v[52:53], v[52:53], -0.5
	v_fma_f64 v[56:57], s[2:3], v[54:55], v[116:117]
	v_fmac_f64_e32 v[116:117], s[0:1], v[54:55]
	v_mul_f64 v[42:43], v[42:43], -0.5
	v_fma_f64 v[88:89], s[2:3], v[60:61], v[110:111]
	v_fmac_f64_e32 v[110:111], s[0:1], v[60:61]
	v_mul_f64 v[96:97], v[96:97], s[2:3]
	v_mul_f64 v[44:45], v[44:45], -0.5
	s_movk_i32 s0, 0x89
	v_add_f64 v[210:211], v[158:159], v[172:173]
	v_add_f64 v[158:159], v[158:159], -v[172:173]
	v_add_f64 v[38:39], v[178:179], v[38:39]
	v_fmac_f64_e32 v[46:47], 0.5, v[164:165]
	v_fmac_f64_e32 v[120:121], s[2:3], v[154:155]
	v_add_f64 v[156:157], v[156:157], v[106:107]
	v_add_f64 v[40:41], v[166:167], v[40:41]
	v_fmac_f64_e32 v[52:53], s[2:3], v[50:51]
	v_add_f64 v[100:101], v[102:103], v[84:85]
	v_add_f64 v[84:85], v[102:103], -v[84:85]
	v_add_f64 v[104:105], v[104:105], v[86:87]
	v_add_f64 v[54:55], v[182:183], v[118:119]
	v_fmac_f64_e32 v[58:59], 0.5, v[184:185]
	v_fmac_f64_e32 v[42:43], s[2:3], v[34:35]
	v_add_f64 v[98:99], v[98:99], v[112:113]
	v_add_f64 v[60:61], v[204:205], v[114:115]
	v_fmac_f64_e32 v[96:97], 0.5, v[206:207]
	v_fmac_f64_e32 v[44:45], s[2:3], v[36:37]
	v_mul_lo_u16_sdwa v109, v140, s0 dst_sel:DWORD dst_unused:UNUSED_PAD src0_sel:BYTE_0 src1_sel:DWORD
	ds_write2_b64 v202, v[208:209], v[210:211] offset1:10
	v_add_f64 v[122:123], v[160:161], v[38:39]
	v_add_f64 v[38:39], v[160:161], -v[38:39]
	v_add_f64 v[154:155], v[48:49], v[46:47]
	v_add_f64 v[46:47], v[48:49], -v[46:47]
	;; [unrolled: 2-line block ×11, first 2 shown]
	ds_write2_b64 v202, v[158:159], v[124:125] offset0:40 offset1:50
	ds_write2_b64 v203, v[122:123], v[154:155] offset1:10
	ds_write2_b64 v203, v[48:49], v[38:39] offset0:20 offset1:30
	ds_write2_b64 v203, v[46:47], v[120:121] offset0:40 offset1:50
	ds_write2_b64 v212, v[50:51], v[100:101] offset1:10
	ds_write2_b64 v212, v[102:103], v[40:41] offset0:20 offset1:30
	;; [unrolled: 3-line block ×4, first 2 shown]
	ds_write2_b64 v214, v[88:89], v[44:45] offset0:40 offset1:50
	v_lshrrev_b16_e32 v84, 13, v109
	s_mov_b32 s0, 0x8889
	v_mul_lo_u16_e32 v34, 60, v84
	v_mul_u32_u24_sdwa v110, v138, s0 dst_sel:DWORD dst_unused:UNUSED_PAD src0_sel:WORD_0 src1_sel:DWORD
	v_mul_u32_u24_sdwa v97, v147, s0 dst_sel:DWORD dst_unused:UNUSED_PAD src0_sel:WORD_0 src1_sel:DWORD
	v_mov_b32_e32 v108, 4
	v_sub_u16_e32 v85, v140, v34
	v_lshrrev_b32_e32 v88, 21, v110
	v_lshrrev_b32_e32 v89, 21, v97
	v_lshlrev_b32_sdwa v34, v108, v85 dst_sel:DWORD dst_unused:UNUSED_PAD src0_sel:DWORD src1_sel:BYTE_0
	v_mul_lo_u16_e32 v38, 60, v88
	v_mul_lo_u16_e32 v39, 60, v89
	v_mul_u32_u24_sdwa v99, v146, s0 dst_sel:DWORD dst_unused:UNUSED_PAD src0_sel:WORD_0 src1_sel:DWORD
	v_mul_u32_u24_sdwa v96, v144, s0 dst_sel:DWORD dst_unused:UNUSED_PAD src0_sel:WORD_0 src1_sel:DWORD
	s_waitcnt lgkmcnt(0)
	s_barrier
	global_load_dwordx4 v[34:37], v34, s[4:5] offset:800
	v_sub_u16_e32 v87, v138, v38
	v_sub_u16_e32 v86, v147, v39
	v_lshrrev_b32_e32 v112, 21, v99
	v_lshrrev_b32_e32 v111, 21, v96
	v_lshlrev_b32_e32 v38, 4, v87
	v_lshlrev_b32_e32 v42, 4, v86
	v_mul_lo_u16_e32 v46, 60, v112
	v_mul_lo_u16_e32 v47, 60, v111
	global_load_dwordx4 v[38:41], v38, s[4:5] offset:800
	s_nop 0
	global_load_dwordx4 v[42:45], v42, s[4:5] offset:800
	v_sub_u16_e32 v114, v146, v46
	v_sub_u16_e32 v113, v144, v47
	v_lshlrev_b32_e32 v46, 4, v114
	v_lshlrev_b32_e32 v50, 4, v113
	global_load_dwordx4 v[46:49], v46, s[4:5] offset:800
	s_nop 0
	global_load_dwordx4 v[50:53], v50, s[4:5] offset:800
	v_mul_u32_u24_sdwa v98, v130, s0 dst_sel:DWORD dst_unused:UNUSED_PAD src0_sel:WORD_0 src1_sel:DWORD
	v_mul_u32_u24_sdwa v100, v131, s0 dst_sel:DWORD dst_unused:UNUSED_PAD src0_sel:WORD_0 src1_sel:DWORD
	v_lshrrev_b32_e32 v115, 21, v98
	v_lshrrev_b32_e32 v203, 21, v100
	v_mul_lo_u16_e32 v54, 60, v115
	v_mul_lo_u16_e32 v55, 60, v203
	v_sub_u16_e32 v202, v130, v54
	v_sub_u16_e32 v204, v131, v55
	v_lshlrev_b32_e32 v54, 4, v202
	v_lshlrev_b32_e32 v55, 4, v204
	v_mul_u32_u24_sdwa v106, v132, s0 dst_sel:DWORD dst_unused:UNUSED_PAD src0_sel:WORD_0 src1_sel:DWORD
	global_load_dwordx4 v[58:61], v54, s[4:5] offset:800
	s_nop 0
	global_load_dwordx4 v[54:57], v55, s[4:5] offset:800
	v_lshrrev_b32_e32 v205, 21, v106
	v_mul_u32_u24_sdwa v107, v133, s0 dst_sel:DWORD dst_unused:UNUSED_PAD src0_sel:WORD_0 src1_sel:DWORD
	v_mul_lo_u16_e32 v101, 60, v205
	v_lshrrev_b32_e32 v207, 21, v107
	v_sub_u16_e32 v206, v132, v101
	v_mul_lo_u16_e32 v102, 60, v207
	v_mul_u32_u24_sdwa v105, v136, s0 dst_sel:DWORD dst_unused:UNUSED_PAD src0_sel:WORD_0 src1_sel:DWORD
	v_lshlrev_b32_e32 v101, 4, v206
	v_sub_u16_e32 v208, v133, v102
	v_lshrrev_b32_e32 v209, 21, v105
	v_lshlrev_b32_e32 v102, 4, v208
	global_load_dwordx4 v[116:119], v101, s[4:5] offset:800
	global_load_dwordx4 v[120:123], v102, s[4:5] offset:800
	v_mul_lo_u16_e32 v101, 60, v209
	v_sub_u16_e32 v210, v136, v101
	v_mul_u32_u24_sdwa v101, v137, s0 dst_sel:DWORD dst_unused:UNUSED_PAD src0_sel:WORD_0 src1_sel:DWORD
	v_lshrrev_b32_e32 v211, 21, v101
	v_mul_lo_u16_e32 v102, 60, v211
	v_sub_u16_e32 v212, v137, v102
	v_lshlrev_b32_e32 v102, 4, v210
	v_lshlrev_b32_e32 v103, 4, v212
	v_mul_u32_u24_sdwa v104, v134, s0 dst_sel:DWORD dst_unused:UNUSED_PAD src0_sel:WORD_0 src1_sel:DWORD
	global_load_dwordx4 v[154:157], v102, s[4:5] offset:800
	global_load_dwordx4 v[158:161], v103, s[4:5] offset:800
	v_lshrrev_b32_e32 v213, 21, v104
	v_mul_u32_u24_sdwa v103, v135, s0 dst_sel:DWORD dst_unused:UNUSED_PAD src0_sel:WORD_0 src1_sel:DWORD
	v_mul_lo_u16_e32 v102, 60, v213
	v_lshrrev_b32_e32 v215, 21, v103
	v_sub_u16_e32 v214, v134, v102
	v_mul_lo_u16_e32 v102, 60, v215
	v_sub_u16_e32 v216, v135, v102
	v_lshlrev_b32_e32 v102, 4, v214
	v_lshlrev_b32_e32 v124, 4, v216
	global_load_dwordx4 v[162:165], v102, s[4:5] offset:800
	global_load_dwordx4 v[166:169], v124, s[4:5] offset:800
	v_mul_u32_u24_sdwa v102, v142, s0 dst_sel:DWORD dst_unused:UNUSED_PAD src0_sel:WORD_0 src1_sel:DWORD
	v_lshrrev_b32_e32 v217, 21, v102
	v_mul_lo_u16_e32 v124, 60, v217
	v_sub_u16_e32 v218, v142, v124
	v_lshlrev_b32_e32 v124, 4, v218
	global_load_dwordx4 v[170:173], v124, s[4:5] offset:800
	v_mul_lo_u16_e32 v124, 0x89, v0
	v_lshrrev_b16_e32 v219, 13, v124
	v_mul_lo_u16_e32 v124, 60, v219
	v_sub_u16_e32 v220, v0, v124
	v_lshlrev_b32_sdwa v124, v108, v220 dst_sel:DWORD dst_unused:UNUSED_PAD src0_sel:DWORD src1_sel:BYTE_0
	global_load_dwordx4 v[174:177], v124, s[4:5] offset:800
	ds_read2st64_b64 v[178:181], v187 offset0:32 offset1:34
	ds_read2st64_b64 v[182:185], v187 offset0:36 offset1:38
	s_movk_i32 s2, 0x3c0
	s_movk_i32 s0, 0x78
	v_cmp_gt_u32_e64 s[0:1], s0, v0
	s_movk_i32 s3, 0x1000
	s_waitcnt vmcnt(14) lgkmcnt(1)
	v_mul_f64 v[124:125], v[178:179], v[36:37]
	v_mul_f64 v[36:37], v[30:31], v[36:37]
	v_fma_f64 v[124:125], v[30:31], v[34:35], -v[124:125]
	v_fmac_f64_e32 v[36:37], v[178:179], v[34:35]
	s_waitcnt vmcnt(13)
	v_mul_f64 v[30:31], v[180:181], v[40:41]
	v_mul_f64 v[34:35], v[32:33], v[40:41]
	v_fma_f64 v[178:179], v[32:33], v[38:39], -v[30:31]
	v_fmac_f64_e32 v[34:35], v[180:181], v[38:39]
	ds_read2st64_b64 v[30:33], v187 offset0:40 offset1:42
	s_waitcnt vmcnt(12) lgkmcnt(1)
	v_mul_f64 v[38:39], v[182:183], v[44:45]
	v_fma_f64 v[180:181], v[26:27], v[42:43], -v[38:39]
	v_mul_f64 v[38:39], v[26:27], v[44:45]
	s_waitcnt vmcnt(11)
	v_mul_f64 v[26:27], v[184:185], v[48:49]
	v_fmac_f64_e32 v[38:39], v[182:183], v[42:43]
	v_fma_f64 v[182:183], v[28:29], v[46:47], -v[26:27]
	v_mul_f64 v[40:41], v[28:29], v[48:49]
	ds_read2st64_b64 v[26:29], v187 offset0:44 offset1:46
	s_waitcnt vmcnt(10) lgkmcnt(1)
	v_mul_f64 v[42:43], v[30:31], v[52:53]
	v_fmac_f64_e32 v[40:41], v[184:185], v[46:47]
	v_fma_f64 v[184:185], v[22:23], v[50:51], -v[42:43]
	v_mul_f64 v[42:43], v[22:23], v[52:53]
	s_waitcnt vmcnt(9)
	v_mul_f64 v[22:23], v[32:33], v[60:61]
	v_fmac_f64_e32 v[42:43], v[30:31], v[50:51]
	v_fma_f64 v[30:31], v[24:25], v[58:59], -v[22:23]
	v_mul_f64 v[44:45], v[24:25], v[60:61]
	s_waitcnt vmcnt(8) lgkmcnt(0)
	v_mul_f64 v[22:23], v[26:27], v[56:57]
	v_fmac_f64_e32 v[44:45], v[32:33], v[58:59]
	v_fma_f64 v[32:33], v[18:19], v[54:55], -v[22:23]
	ds_read2st64_b64 v[22:25], v187 offset0:48 offset1:50
	v_mul_f64 v[46:47], v[18:19], v[56:57]
	v_fmac_f64_e32 v[46:47], v[26:27], v[54:55]
	s_waitcnt vmcnt(7)
	v_mul_f64 v[18:19], v[28:29], v[118:119]
	v_fma_f64 v[26:27], v[20:21], v[116:117], -v[18:19]
	v_mul_f64 v[48:49], v[20:21], v[118:119]
	s_waitcnt vmcnt(6) lgkmcnt(0)
	v_mul_f64 v[18:19], v[22:23], v[122:123]
	v_fmac_f64_e32 v[48:49], v[28:29], v[116:117]
	v_fma_f64 v[28:29], v[14:15], v[120:121], -v[18:19]
	ds_read2st64_b64 v[18:21], v187 offset0:52 offset1:54
	v_mul_f64 v[50:51], v[14:15], v[122:123]
	v_fmac_f64_e32 v[50:51], v[22:23], v[120:121]
	s_waitcnt vmcnt(5)
	v_mul_f64 v[14:15], v[24:25], v[156:157]
	v_fma_f64 v[22:23], v[16:17], v[154:155], -v[14:15]
	v_mul_f64 v[52:53], v[16:17], v[156:157]
	s_waitcnt vmcnt(4) lgkmcnt(0)
	v_mul_f64 v[14:15], v[18:19], v[160:161]
	v_fmac_f64_e32 v[52:53], v[24:25], v[154:155]
	v_fma_f64 v[24:25], v[10:11], v[158:159], -v[14:15]
	ds_read2st64_b64 v[14:17], v187 offset0:56 offset1:58
	v_mul_f64 v[54:55], v[10:11], v[160:161]
	v_fmac_f64_e32 v[54:55], v[18:19], v[158:159]
	s_waitcnt vmcnt(3)
	v_mul_f64 v[10:11], v[20:21], v[164:165]
	v_fma_f64 v[18:19], v[12:13], v[162:163], -v[10:11]
	v_mul_f64 v[56:57], v[12:13], v[164:165]
	s_waitcnt vmcnt(2) lgkmcnt(0)
	v_mul_f64 v[10:11], v[14:15], v[168:169]
	v_fmac_f64_e32 v[56:57], v[20:21], v[162:163]
	v_fma_f64 v[20:21], v[6:7], v[166:167], -v[10:11]
	ds_read2st64_b64 v[10:13], v187 offset1:30
	v_mul_f64 v[58:59], v[6:7], v[168:169]
	s_waitcnt vmcnt(1)
	v_mul_f64 v[6:7], v[16:17], v[172:173]
	v_fma_f64 v[6:7], v[8:9], v[170:171], -v[6:7]
	v_mul_f64 v[60:61], v[8:9], v[172:173]
	v_fmac_f64_e32 v[58:59], v[14:15], v[166:167]
	v_fmac_f64_e32 v[60:61], v[16:17], v[170:171]
	s_waitcnt vmcnt(0) lgkmcnt(0)
	v_mul_f64 v[8:9], v[12:13], v[176:177]
	v_fma_f64 v[8:9], v[4:5], v[174:175], -v[8:9]
	v_mul_f64 v[4:5], v[4:5], v[176:177]
	v_fmac_f64_e32 v[4:5], v[12:13], v[174:175]
	v_add_f64 v[8:9], v[2:3], -v[8:9]
	v_mul_u32_u24_e32 v12, 0x3c0, v219
	v_lshlrev_b32_sdwa v13, v201, v220 dst_sel:DWORD dst_unused:UNUSED_PAD src0_sel:DWORD src1_sel:BYTE_0
	v_fma_f64 v[2:3], v[2:3], 2.0, -v[8:9]
	v_add3_u32 v174, 0, v12, v13
	ds_read_b64 v[116:117], v192
	ds_read_b64 v[118:119], v143
	;; [unrolled: 1-line block ×14, first 2 shown]
	s_waitcnt lgkmcnt(0)
	s_barrier
	ds_write2_b64 v174, v[2:3], v[8:9] offset1:60
	v_mul_u32_u24_e32 v2, 0x3c0, v84
	v_lshlrev_b32_sdwa v3, v201, v85 dst_sel:DWORD dst_unused:UNUSED_PAD src0_sel:DWORD src1_sel:BYTE_0
	v_add3_u32 v175, 0, v2, v3
	v_add_f64 v[2:3], v[90:91], -v[124:125]
	v_fma_f64 v[8:9], v[90:91], 2.0, -v[2:3]
	ds_write2_b64 v175, v[8:9], v[2:3] offset1:60
	v_perm_b32 v2, v89, v88, s7
	v_pk_mul_lo_u16 v12, v2, s2 op_sel_hi:[1,0]
	v_lshlrev_b32_e32 v2, 3, v87
	v_and_b32_e32 v3, 0xffc0, v12
	v_add3_u32 v124, 0, v3, v2
	v_add_f64 v[2:3], v[80:81], -v[178:179]
	v_fma_f64 v[8:9], v[80:81], 2.0, -v[2:3]
	ds_write2_b64 v124, v[8:9], v[2:3] offset1:60
	v_lshrrev_b32_e32 v2, 16, v12
	v_lshlrev_b32_e32 v3, 3, v86
	v_add3_u32 v125, 0, v2, v3
	v_add_f64 v[2:3], v[94:95], -v[180:181]
	v_fma_f64 v[8:9], v[94:95], 2.0, -v[2:3]
	ds_write2_b64 v125, v[8:9], v[2:3] offset1:60
	v_mul_u32_u24_e32 v2, 0x3c0, v112
	v_lshlrev_b32_e32 v3, 3, v114
	v_add3_u32 v94, 0, v2, v3
	v_add_f64 v[2:3], v[92:93], -v[182:183]
	v_fma_f64 v[8:9], v[92:93], 2.0, -v[2:3]
	ds_write2_b64 v94, v[8:9], v[2:3] offset1:60
	v_mul_u32_u24_e32 v2, 0x3c0, v111
	v_lshlrev_b32_e32 v3, 3, v113
	v_add3_u32 v95, 0, v2, v3
	v_add_f64 v[2:3], v[74:75], -v[184:185]
	v_fma_f64 v[8:9], v[74:75], 2.0, -v[2:3]
	ds_write2_b64 v95, v[8:9], v[2:3] offset1:60
	v_perm_b32 v2, v203, v115, s7
	v_pk_mul_lo_u16 v12, v2, s2 op_sel_hi:[1,0]
	v_lshlrev_b32_e32 v2, 3, v202
	v_and_b32_e32 v3, 0xffc0, v12
	v_add3_u32 v111, 0, v3, v2
	v_add_f64 v[2:3], v[82:83], -v[30:31]
	v_fma_f64 v[8:9], v[82:83], 2.0, -v[2:3]
	ds_write2_b64 v111, v[8:9], v[2:3] offset1:60
	v_lshrrev_b32_e32 v2, 16, v12
	v_lshlrev_b32_e32 v3, 3, v204
	v_add3_u32 v112, 0, v2, v3
	v_add_f64 v[2:3], v[78:79], -v[32:33]
	v_fma_f64 v[8:9], v[78:79], 2.0, -v[2:3]
	ds_write2_b64 v112, v[8:9], v[2:3] offset1:60
	v_perm_b32 v2, v207, v205, s7
	v_pk_mul_lo_u16 v12, v2, s2 op_sel_hi:[1,0]
	v_lshlrev_b32_e32 v2, 3, v206
	v_and_b32_e32 v3, 0xffc0, v12
	v_add3_u32 v113, 0, v3, v2
	v_add_f64 v[2:3], v[76:77], -v[26:27]
	v_fma_f64 v[8:9], v[76:77], 2.0, -v[2:3]
	ds_write2_b64 v113, v[8:9], v[2:3] offset1:60
	v_lshrrev_b32_e32 v2, 16, v12
	v_lshlrev_b32_e32 v3, 3, v208
	v_add3_u32 v114, 0, v2, v3
	v_add_f64 v[2:3], v[72:73], -v[28:29]
	v_fma_f64 v[8:9], v[72:73], 2.0, -v[2:3]
	ds_write2_b64 v114, v[8:9], v[2:3] offset1:60
	v_add_f64 v[2:3], v[70:71], -v[22:23]
	v_perm_b32 v22, v211, v209, s7
	v_pk_mul_lo_u16 v22, v22, s2 op_sel_hi:[1,0]
	v_add_f64 v[8:9], v[68:69], -v[24:25]
	v_and_b32_e32 v23, 0xffc0, v22
	v_lshlrev_b32_e32 v24, 3, v210
	v_add_f64 v[82:83], v[10:11], -v[4:5]
	v_fma_f64 v[4:5], v[70:71], 2.0, -v[2:3]
	v_add3_u32 v115, 0, v23, v24
	ds_write2_b64 v115, v[4:5], v[2:3] offset1:60
	v_lshrrev_b32_e32 v2, 16, v22
	v_lshlrev_b32_e32 v3, 3, v212
	v_add3_u32 v176, 0, v2, v3
	v_perm_b32 v2, v215, v213, s7
	v_pk_mul_lo_u16 v2, v2, s2 op_sel_hi:[1,0]
	v_lshlrev_b32_e32 v4, 3, v214
	v_and_b32_e32 v3, 0xffc0, v2
	v_add3_u32 v177, 0, v3, v4
	v_lshrrev_b32_e32 v2, 16, v2
	v_lshlrev_b32_e32 v3, 3, v216
	v_add_f64 v[12:13], v[66:67], -v[18:19]
	v_add_f64 v[16:17], v[64:65], -v[20:21]
	;; [unrolled: 1-line block ×3, first 2 shown]
	v_add3_u32 v178, 0, v2, v3
	v_mul_u32_u24_e32 v2, 0x3c0, v217
	v_lshlrev_b32_e32 v3, 3, v218
	v_fma_f64 v[92:93], v[10:11], 2.0, -v[82:83]
	v_fma_f64 v[10:11], v[68:69], 2.0, -v[8:9]
	;; [unrolled: 1-line block ×5, first 2 shown]
	v_add3_u32 v179, 0, v2, v3
	v_add_f64 v[36:37], v[116:117], -v[36:37]
	ds_write2_b64 v176, v[10:11], v[8:9] offset1:60
	ds_write2_b64 v177, v[14:15], v[12:13] offset1:60
	ds_write2_b64 v178, v[18:19], v[16:17] offset1:60
	ds_write2_b64 v179, v[20:21], v[6:7] offset1:60
	s_waitcnt lgkmcnt(0)
	s_barrier
	ds_read_b64 v[90:91], v192
	ds_read_b64 v[86:87], v143
	;; [unrolled: 1-line block ×14, first 2 shown]
	ds_read2st64_b64 v[2:5], v187 offset1:30
	ds_read2st64_b64 v[30:33], v187 offset0:32 offset1:34
	ds_read2st64_b64 v[26:29], v187 offset0:36 offset1:38
	;; [unrolled: 1-line block ×7, first 2 shown]
	s_waitcnt lgkmcnt(0)
	s_barrier
	ds_write2_b64 v174, v[92:93], v[82:83] offset1:60
	v_fma_f64 v[82:83], v[116:117], 2.0, -v[36:37]
	v_add_f64 v[34:35], v[118:119], -v[34:35]
	ds_write2_b64 v175, v[82:83], v[36:37] offset1:60
	v_fma_f64 v[36:37], v[118:119], 2.0, -v[34:35]
	ds_write2_b64 v124, v[36:37], v[34:35] offset1:60
	v_add_f64 v[34:35], v[162:163], -v[38:39]
	v_fma_f64 v[36:37], v[162:163], 2.0, -v[34:35]
	ds_write2_b64 v125, v[36:37], v[34:35] offset1:60
	v_add_f64 v[34:35], v[160:161], -v[40:41]
	;; [unrolled: 3-line block ×5, first 2 shown]
	v_add_f64 v[60:61], v[172:173], -v[60:61]
	v_fma_f64 v[36:37], v[154:155], 2.0, -v[34:35]
	v_add_f64 v[38:39], v[156:157], -v[48:49]
	v_add_f64 v[42:43], v[158:159], -v[50:51]
	;; [unrolled: 1-line block ×6, first 2 shown]
	v_fma_f64 v[92:93], v[172:173], 2.0, -v[60:61]
	v_fma_f64 v[40:41], v[156:157], 2.0, -v[38:39]
	;; [unrolled: 1-line block ×7, first 2 shown]
	ds_write2_b64 v112, v[36:37], v[34:35] offset1:60
	ds_write2_b64 v113, v[40:41], v[38:39] offset1:60
	;; [unrolled: 1-line block ×8, first 2 shown]
	v_lshrrev_b16_e32 v92, 14, v109
	v_mul_lo_u16_e32 v34, 0x78, v92
	v_sub_u16_e32 v93, v140, v34
	v_lshlrev_b32_sdwa v34, v108, v93 dst_sel:DWORD dst_unused:UNUSED_PAD src0_sel:DWORD src1_sel:BYTE_0
	s_waitcnt lgkmcnt(0)
	s_barrier
	global_load_dwordx4 v[34:37], v34, s[4:5] offset:1760
	v_lshrrev_b32_e32 v94, 22, v110
	v_lshrrev_b32_e32 v109, 22, v97
	v_mul_lo_u16_e32 v38, 0x78, v94
	v_mul_lo_u16_e32 v39, 0x78, v109
	v_sub_u16_e32 v95, v138, v38
	v_sub_u16_e32 v108, v147, v39
	v_lshlrev_b32_e32 v38, 4, v95
	v_lshlrev_b32_e32 v39, 4, v108
	v_lshrrev_b32_e32 v180, 22, v99
	v_lshrrev_b32_e32 v182, 22, v96
	global_load_dwordx4 v[42:45], v38, s[4:5] offset:1760
	s_nop 0
	global_load_dwordx4 v[38:41], v39, s[4:5] offset:1760
	v_mul_lo_u16_e32 v46, 0x78, v180
	v_mul_lo_u16_e32 v47, 0x78, v182
	v_sub_u16_e32 v181, v146, v46
	v_sub_u16_e32 v183, v144, v47
	v_lshlrev_b32_e32 v46, 4, v181
	v_lshlrev_b32_e32 v47, 4, v183
	global_load_dwordx4 v[50:53], v46, s[4:5] offset:1760
	s_nop 0
	global_load_dwordx4 v[46:49], v47, s[4:5] offset:1760
	v_lshrrev_b32_e32 v184, 22, v98
	v_lshrrev_b32_e32 v202, 22, v100
	v_mul_lo_u16_e32 v54, 0x78, v184
	v_mul_lo_u16_e32 v55, 0x78, v202
	v_sub_u16_e32 v185, v130, v54
	v_sub_u16_e32 v203, v131, v55
	v_lshlrev_b32_e32 v54, 4, v185
	v_lshlrev_b32_e32 v55, 4, v203
	global_load_dwordx4 v[58:61], v54, s[4:5] offset:1760
	s_nop 0
	global_load_dwordx4 v[54:57], v55, s[4:5] offset:1760
	v_lshrrev_b32_e32 v204, 22, v106
	v_mul_lo_u16_e32 v82, 0x78, v204
	v_lshrrev_b32_e32 v206, 22, v107
	v_sub_u16_e32 v205, v132, v82
	v_mul_lo_u16_e32 v83, 0x78, v206
	v_lshlrev_b32_e32 v82, 4, v205
	v_sub_u16_e32 v207, v133, v83
	v_lshlrev_b32_e32 v83, 4, v207
	global_load_dwordx4 v[110:113], v82, s[4:5] offset:1760
	global_load_dwordx4 v[114:117], v83, s[4:5] offset:1760
	v_lshrrev_b32_e32 v208, 22, v105
	v_mul_lo_u16_e32 v82, 0x78, v208
	v_lshrrev_b32_e32 v210, 22, v101
	v_sub_u16_e32 v209, v136, v82
	v_mul_lo_u16_e32 v82, 0x78, v210
	v_sub_u16_e32 v211, v137, v82
	v_lshlrev_b32_e32 v82, 4, v209
	v_lshlrev_b32_e32 v83, 4, v211
	global_load_dwordx4 v[118:121], v82, s[4:5] offset:1760
	global_load_dwordx4 v[122:125], v83, s[4:5] offset:1760
	v_lshrrev_b32_e32 v212, 22, v104
	v_mul_lo_u16_e32 v82, 0x78, v212
	v_lshrrev_b32_e32 v214, 22, v103
	v_sub_u16_e32 v213, v134, v82
	v_mul_lo_u16_e32 v82, 0x78, v214
	v_sub_u16_e32 v215, v135, v82
	v_lshlrev_b32_e32 v82, 4, v213
	v_lshrrev_b32_e32 v216, 22, v102
	v_lshlrev_b32_e32 v83, 4, v215
	global_load_dwordx4 v[154:157], v82, s[4:5] offset:1760
	global_load_dwordx4 v[158:161], v83, s[4:5] offset:1760
	v_mul_lo_u16_e32 v82, 0x78, v216
	v_sub_u16_e32 v217, v142, v82
	v_lshlrev_b32_e32 v82, 4, v217
	global_load_dwordx4 v[162:165], v82, s[4:5] offset:1760
	v_add_u32_e32 v82, 0xffffff88, v0
	v_cndmask_b32_e64 v82, v82, v0, s[0:1]
	v_mov_b32_e32 v83, 0
	v_lshl_add_u64 v[166:167], v[82:83], 4, s[4:5]
	global_load_dwordx4 v[166:169], v[166:167], off offset:1760
	ds_read2st64_b64 v[170:173], v187 offset0:32 offset1:34
	s_movk_i32 s0, 0x77
	v_cmp_lt_u32_e64 s[0:1], s0, v0
	s_waitcnt vmcnt(14) lgkmcnt(0)
	v_mul_f64 v[174:175], v[170:171], v[36:37]
	v_fma_f64 v[178:179], v[30:31], v[34:35], -v[174:175]
	ds_read2st64_b64 v[174:177], v187 offset0:36 offset1:38
	v_mul_f64 v[36:37], v[30:31], v[36:37]
	v_fmac_f64_e32 v[36:37], v[170:171], v[34:35]
	s_waitcnt vmcnt(13)
	v_mul_f64 v[30:31], v[172:173], v[44:45]
	v_fma_f64 v[170:171], v[32:33], v[42:43], -v[30:31]
	v_mul_f64 v[34:35], v[32:33], v[44:45]
	s_waitcnt vmcnt(12) lgkmcnt(0)
	v_mul_f64 v[30:31], v[174:175], v[40:41]
	v_fmac_f64_e32 v[34:35], v[172:173], v[42:43]
	v_fma_f64 v[172:173], v[26:27], v[38:39], -v[30:31]
	ds_read2st64_b64 v[30:33], v187 offset0:40 offset1:42
	v_mul_f64 v[40:41], v[26:27], v[40:41]
	s_waitcnt vmcnt(11)
	v_mul_f64 v[26:27], v[176:177], v[52:53]
	v_fmac_f64_e32 v[40:41], v[174:175], v[38:39]
	v_fma_f64 v[174:175], v[28:29], v[50:51], -v[26:27]
	v_mul_f64 v[38:39], v[28:29], v[52:53]
	ds_read2st64_b64 v[26:29], v187 offset0:44 offset1:46
	s_waitcnt vmcnt(10) lgkmcnt(1)
	v_mul_f64 v[42:43], v[30:31], v[48:49]
	v_fmac_f64_e32 v[38:39], v[176:177], v[50:51]
	v_fma_f64 v[176:177], v[22:23], v[46:47], -v[42:43]
	v_mul_f64 v[42:43], v[22:23], v[48:49]
	s_waitcnt vmcnt(9)
	v_mul_f64 v[22:23], v[32:33], v[60:61]
	v_fmac_f64_e32 v[42:43], v[30:31], v[46:47]
	v_fma_f64 v[30:31], v[24:25], v[58:59], -v[22:23]
	v_mul_f64 v[44:45], v[24:25], v[60:61]
	s_waitcnt vmcnt(8) lgkmcnt(0)
	v_mul_f64 v[22:23], v[26:27], v[56:57]
	v_fmac_f64_e32 v[44:45], v[32:33], v[58:59]
	v_fma_f64 v[32:33], v[18:19], v[54:55], -v[22:23]
	ds_read2st64_b64 v[22:25], v187 offset0:48 offset1:50
	v_mul_f64 v[46:47], v[18:19], v[56:57]
	s_waitcnt vmcnt(7)
	v_mul_f64 v[18:19], v[28:29], v[112:113]
	v_fmac_f64_e32 v[46:47], v[26:27], v[54:55]
	v_fma_f64 v[26:27], v[20:21], v[110:111], -v[18:19]
	v_mul_f64 v[48:49], v[20:21], v[112:113]
	s_waitcnt vmcnt(6) lgkmcnt(0)
	v_mul_f64 v[18:19], v[22:23], v[116:117]
	v_fmac_f64_e32 v[48:49], v[28:29], v[110:111]
	v_fma_f64 v[28:29], v[14:15], v[114:115], -v[18:19]
	ds_read2st64_b64 v[18:21], v187 offset0:52 offset1:54
	;; [unrolled: 11-line block ×3, first 2 shown]
	v_mul_f64 v[54:55], v[10:11], v[124:125]
	s_waitcnt vmcnt(3)
	v_mul_f64 v[10:11], v[20:21], v[156:157]
	v_fmac_f64_e32 v[54:55], v[18:19], v[122:123]
	v_fma_f64 v[18:19], v[12:13], v[154:155], -v[10:11]
	v_mul_f64 v[56:57], v[12:13], v[156:157]
	s_waitcnt vmcnt(2) lgkmcnt(0)
	v_mul_f64 v[10:11], v[14:15], v[160:161]
	v_fmac_f64_e32 v[56:57], v[20:21], v[154:155]
	v_fma_f64 v[20:21], v[6:7], v[158:159], -v[10:11]
	ds_read2st64_b64 v[10:13], v187 offset1:30
	v_mul_f64 v[58:59], v[6:7], v[160:161]
	s_waitcnt vmcnt(1)
	v_mul_f64 v[6:7], v[16:17], v[164:165]
	v_fma_f64 v[6:7], v[8:9], v[162:163], -v[6:7]
	v_mul_f64 v[60:61], v[8:9], v[164:165]
	s_waitcnt vmcnt(0) lgkmcnt(0)
	v_mul_f64 v[8:9], v[12:13], v[168:169]
	v_fma_f64 v[8:9], v[4:5], v[166:167], -v[8:9]
	v_mul_f64 v[4:5], v[4:5], v[168:169]
	v_fmac_f64_e32 v[4:5], v[12:13], v[166:167]
	v_mov_b32_e32 v12, 0x780
	v_add_f64 v[8:9], v[2:3], -v[8:9]
	v_cndmask_b32_e64 v12, 0, v12, s[0:1]
	v_lshlrev_b32_e32 v13, 3, v82
	v_fma_f64 v[2:3], v[2:3], 2.0, -v[8:9]
	v_add3_u32 v82, 0, v12, v13
	v_fmac_f64_e32 v[58:59], v[14:15], v[158:159]
	v_fmac_f64_e32 v[60:61], v[16:17], v[162:163]
	ds_read_b64 v[110:111], v192
	ds_read_b64 v[112:113], v143
	;; [unrolled: 1-line block ×14, first 2 shown]
	s_waitcnt lgkmcnt(0)
	s_barrier
	ds_write2_b64 v82, v[2:3], v[8:9] offset1:120
	v_lshlrev_b32_sdwa v2, v201, v93 dst_sel:DWORD dst_unused:UNUSED_PAD src0_sel:DWORD src1_sel:BYTE_0
	v_mul_u32_u24_e32 v3, 0x780, v92
	v_add3_u32 v166, 0, v3, v2
	v_add_f64 v[2:3], v[90:91], -v[178:179]
	v_fma_f64 v[8:9], v[90:91], 2.0, -v[2:3]
	ds_write2_b64 v166, v[8:9], v[2:3] offset1:120
	v_mul_u32_u24_e32 v2, 0x780, v94
	v_lshlrev_b32_e32 v3, 3, v95
	v_add3_u32 v167, 0, v2, v3
	v_add_f64 v[2:3], v[86:87], -v[170:171]
	v_fma_f64 v[8:9], v[86:87], 2.0, -v[2:3]
	ds_write2_b64 v167, v[8:9], v[2:3] offset1:120
	v_perm_b32 v2, v109, v180, s7
	s_movk_i32 s0, 0x780
	v_pk_mul_lo_u16 v12, v2, s0 op_sel_hi:[1,0]
	v_lshlrev_b32_e32 v2, 3, v108
	v_lshrrev_b32_e32 v3, 16, v12
	v_add3_u32 v108, 0, v3, v2
	v_add_f64 v[2:3], v[88:89], -v[172:173]
	v_fma_f64 v[8:9], v[88:89], 2.0, -v[2:3]
	ds_write2_b64 v108, v[8:9], v[2:3] offset1:120
	v_and_b32_e32 v2, 0xff80, v12
	v_lshlrev_b32_e32 v3, 3, v181
	v_add3_u32 v109, 0, v2, v3
	v_add_f64 v[2:3], v[84:85], -v[174:175]
	v_fma_f64 v[8:9], v[84:85], 2.0, -v[2:3]
	ds_write2_b64 v109, v[8:9], v[2:3] offset1:120
	v_perm_b32 v2, v184, v182, s7
	v_pk_mul_lo_u16 v12, v2, s0 op_sel_hi:[1,0]
	v_lshlrev_b32_e32 v2, 3, v183
	v_and_b32_e32 v3, 0xff80, v12
	v_add3_u32 v168, 0, v3, v2
	v_add_f64 v[2:3], v[80:81], -v[176:177]
	v_fma_f64 v[8:9], v[80:81], 2.0, -v[2:3]
	ds_write2_b64 v168, v[8:9], v[2:3] offset1:120
	v_lshrrev_b32_e32 v2, 16, v12
	v_lshlrev_b32_e32 v3, 3, v185
	v_add3_u32 v169, 0, v2, v3
	v_add_f64 v[2:3], v[78:79], -v[30:31]
	v_fma_f64 v[8:9], v[78:79], 2.0, -v[2:3]
	ds_write2_b64 v169, v[8:9], v[2:3] offset1:120
	v_mul_u32_u24_e32 v2, 0x780, v202
	v_lshlrev_b32_e32 v3, 3, v203
	v_add3_u32 v170, 0, v2, v3
	v_add_f64 v[2:3], v[76:77], -v[32:33]
	v_fma_f64 v[8:9], v[76:77], 2.0, -v[2:3]
	ds_write2_b64 v170, v[8:9], v[2:3] offset1:120
	v_mul_u32_u24_e32 v2, 0x780, v204
	v_lshlrev_b32_e32 v3, 3, v205
	v_add3_u32 v171, 0, v2, v3
	v_add_f64 v[2:3], v[74:75], -v[26:27]
	v_fma_f64 v[8:9], v[74:75], 2.0, -v[2:3]
	ds_write2_b64 v171, v[8:9], v[2:3] offset1:120
	v_add_f64 v[2:3], v[62:63], -v[28:29]
	v_mul_u32_u24_e32 v26, 0x780, v206
	v_lshlrev_b32_e32 v27, 3, v207
	v_add_f64 v[84:85], v[10:11], -v[4:5]
	v_fma_f64 v[4:5], v[62:63], 2.0, -v[2:3]
	v_add3_u32 v172, 0, v26, v27
	ds_write2_b64 v172, v[4:5], v[2:3] offset1:120
	v_mul_u32_u24_e32 v2, 0x780, v208
	v_lshlrev_b32_e32 v3, 3, v209
	v_add3_u32 v173, 0, v2, v3
	v_mul_u32_u24_e32 v2, 0x780, v210
	v_lshlrev_b32_e32 v3, 3, v211
	v_add3_u32 v174, 0, v2, v3
	;; [unrolled: 3-line block ×3, first 2 shown]
	v_mul_u32_u24_e32 v2, 0x780, v214
	v_lshlrev_b32_e32 v3, 3, v215
	v_add_f64 v[8:9], v[72:73], -v[22:23]
	v_add_f64 v[12:13], v[68:69], -v[24:25]
	;; [unrolled: 1-line block ×5, first 2 shown]
	v_add3_u32 v176, 0, v2, v3
	v_mul_u32_u24_e32 v2, 0x780, v216
	v_lshlrev_b32_e32 v3, 3, v217
	v_fma_f64 v[94:95], v[10:11], 2.0, -v[84:85]
	v_fma_f64 v[10:11], v[72:73], 2.0, -v[8:9]
	v_fma_f64 v[14:15], v[68:69], 2.0, -v[12:13]
	v_fma_f64 v[18:19], v[70:71], 2.0, -v[16:17]
	v_fma_f64 v[22:23], v[64:65], 2.0, -v[20:21]
	v_fma_f64 v[24:25], v[66:67], 2.0, -v[6:7]
	v_add3_u32 v177, 0, v2, v3
	v_add_f64 v[36:37], v[110:111], -v[36:37]
	ds_write2_b64 v173, v[10:11], v[8:9] offset1:120
	ds_write2_b64 v174, v[14:15], v[12:13] offset1:120
	ds_write2_b64 v175, v[18:19], v[16:17] offset1:120
	ds_write2_b64 v176, v[22:23], v[20:21] offset1:120
	ds_write2_b64 v177, v[24:25], v[6:7] offset1:120
	s_waitcnt lgkmcnt(0)
	s_barrier
	ds_read2st64_b64 v[2:5], v187 offset1:30
	ds_read_b64 v[90:91], v192
	ds_read_b64 v[86:87], v143
	;; [unrolled: 1-line block ×14, first 2 shown]
	ds_read2st64_b64 v[30:33], v187 offset0:32 offset1:34
	ds_read2st64_b64 v[26:29], v187 offset0:36 offset1:38
	;; [unrolled: 1-line block ×7, first 2 shown]
	s_waitcnt lgkmcnt(0)
	s_barrier
	ds_write2_b64 v82, v[94:95], v[84:85] offset1:120
	v_fma_f64 v[84:85], v[110:111], 2.0, -v[36:37]
	v_add_f64 v[34:35], v[112:113], -v[34:35]
	ds_write2_b64 v166, v[84:85], v[36:37] offset1:120
	v_fma_f64 v[36:37], v[112:113], 2.0, -v[34:35]
	ds_write2_b64 v167, v[36:37], v[34:35] offset1:120
	v_add_f64 v[34:35], v[154:155], -v[40:41]
	v_fma_f64 v[36:37], v[154:155], 2.0, -v[34:35]
	ds_write2_b64 v108, v[36:37], v[34:35] offset1:120
	v_add_f64 v[34:35], v[124:125], -v[38:39]
	;; [unrolled: 3-line block ×4, first 2 shown]
	v_fma_f64 v[36:37], v[116:117], 2.0, -v[34:35]
	v_add_f64 v[38:39], v[118:119], -v[46:47]
	v_add_f64 v[42:43], v[120:121], -v[48:49]
	;; [unrolled: 1-line block ×8, first 2 shown]
	s_movk_i32 s0, 0xf0
	v_fma_f64 v[40:41], v[118:119], 2.0, -v[38:39]
	v_fma_f64 v[44:45], v[120:121], 2.0, -v[42:43]
	;; [unrolled: 1-line block ×8, first 2 shown]
	ds_write2_b64 v169, v[36:37], v[34:35] offset1:120
	ds_write2_b64 v170, v[40:41], v[38:39] offset1:120
	;; [unrolled: 1-line block ×9, first 2 shown]
	v_add_u32_e32 v34, 0xffffff90, v0
	v_cmp_gt_u32_e64 s[0:1], s0, v140
	v_lshrrev_b32_e32 v174, 23, v97
	v_mul_lo_u16_e32 v40, 0xf0, v174
	v_cndmask_b32_e64 v82, v34, v140, s[0:1]
	v_lshl_add_u64 v[38:39], v[82:83], 4, s[4:5]
	s_waitcnt lgkmcnt(0)
	s_barrier
	v_lshl_add_u64 v[84:85], v[0:1], 4, s[4:5]
	global_load_dwordx4 v[42:45], v[38:39], off offset:3680
	v_sub_u16_e32 v175, v147, v40
	global_load_dwordx4 v[34:37], v[84:85], off offset:3936
	v_lshlrev_b32_e32 v38, 4, v175
	global_load_dwordx4 v[38:41], v38, s[4:5] offset:3680
	v_lshrrev_b32_e32 v46, 23, v99
	v_lshrrev_b32_e32 v176, 23, v96
	v_mul_lo_u16_e32 v46, 0xf0, v46
	v_mul_lo_u16_e32 v47, 0xf0, v176
	v_sub_u16_e32 v146, v146, v46
	v_sub_u16_e32 v177, v144, v47
	v_lshrrev_b32_e32 v54, 23, v98
	v_lshlrev_b32_e32 v46, 4, v146
	v_lshlrev_b32_e32 v47, 4, v177
	v_mul_lo_u16_e32 v54, 0xf0, v54
	global_load_dwordx4 v[50:53], v46, s[4:5] offset:3680
	s_nop 0
	global_load_dwordx4 v[46:49], v47, s[4:5] offset:3680
	v_sub_u16_e32 v178, v130, v54
	v_lshlrev_b32_e32 v54, 4, v178
	v_lshrrev_b32_e32 v94, 23, v106
	v_lshrrev_b32_e32 v179, 23, v100
	global_load_dwordx4 v[58:61], v54, s[4:5] offset:3680
	v_mul_lo_u16_e32 v94, 0xf0, v94
	v_mul_lo_u16_e32 v55, 0xf0, v179
	v_sub_u16_e32 v181, v132, v94
	v_lshrrev_b32_e32 v182, 23, v107
	v_sub_u16_e32 v180, v131, v55
	v_lshlrev_b32_e32 v94, 4, v181
	v_mul_lo_u16_e32 v95, 0xf0, v182
	v_sub_u16_e32 v183, v133, v95
	global_load_dwordx4 v[94:97], v94, s[4:5] offset:3680
	v_lshlrev_b32_e32 v54, 4, v180
	global_load_dwordx4 v[54:57], v54, s[4:5] offset:3680
	v_lshlrev_b32_e32 v98, 4, v183
	global_load_dwordx4 v[108:111], v98, s[4:5] offset:3680
	v_lshrrev_b32_e32 v98, 23, v105
	v_mul_lo_u16_e32 v98, 0xf0, v98
	v_lshrrev_b32_e32 v185, 23, v101
	v_sub_u16_e32 v184, v136, v98
	v_mul_lo_u16_e32 v99, 0xf0, v185
	v_lshlrev_b32_e32 v98, 4, v184
	v_sub_u16_e32 v201, v137, v99
	global_load_dwordx4 v[112:115], v98, s[4:5] offset:3680
	v_lshlrev_b32_e32 v98, 4, v201
	global_load_dwordx4 v[116:119], v98, s[4:5] offset:3680
	v_lshrrev_b32_e32 v98, 23, v104
	v_mul_lo_u16_e32 v98, 0xf0, v98
	v_sub_u16_e32 v202, v134, v98
	v_lshlrev_b32_e32 v98, 4, v202
	v_lshrrev_b32_e32 v203, 23, v103
	global_load_dwordx4 v[120:123], v98, s[4:5] offset:3680
	v_mul_lo_u16_e32 v98, 0xf0, v203
	v_sub_u16_e32 v204, v135, v98
	v_lshlrev_b32_e32 v98, 4, v204
	global_load_dwordx4 v[154:157], v98, s[4:5] offset:3680
	v_lshrrev_b32_e32 v98, 23, v102
	v_mul_lo_u16_e32 v98, 0xf0, v98
	v_sub_u16_e32 v205, v142, v98
	v_lshlrev_b32_e32 v98, 4, v205
	global_load_dwordx4 v[158:161], v98, s[4:5] offset:3680
	global_load_dwordx4 v[162:165], v[84:85], off offset:3680
	ds_read2st64_b64 v[166:169], v187 offset0:32 offset1:34
	ds_read2st64_b64 v[170:173], v187 offset0:36 offset1:38
	s_movk_i32 s0, 0xef
	v_cmp_lt_u32_e64 s[0:1], s0, v140
	v_lshl_add_u32 v130, v0, 3, 0
	v_mul_lo_u16_sdwa v106, v106, s6 dst_sel:DWORD dst_unused:UNUSED_PAD src0_sel:BYTE_3 src1_sel:DWORD
	v_mul_lo_u16_sdwa v105, v105, s6 dst_sel:DWORD dst_unused:UNUSED_PAD src0_sel:BYTE_3 src1_sel:DWORD
	;; [unrolled: 1-line block ×5, first 2 shown]
	s_waitcnt vmcnt(14) lgkmcnt(1)
	v_mul_f64 v[98:99], v[166:167], v[44:45]
	v_fma_f64 v[98:99], v[30:31], v[42:43], -v[98:99]
	v_mul_f64 v[44:45], v[30:31], v[44:45]
	s_waitcnt vmcnt(13)
	v_mul_f64 v[30:31], v[168:169], v[36:37]
	v_fma_f64 v[124:125], v[32:33], v[34:35], -v[30:31]
	s_waitcnt vmcnt(12) lgkmcnt(0)
	v_mul_f64 v[30:31], v[170:171], v[40:41]
	v_fmac_f64_e32 v[44:45], v[166:167], v[42:43]
	v_mul_f64 v[36:37], v[32:33], v[36:37]
	v_fma_f64 v[166:167], v[26:27], v[38:39], -v[30:31]
	ds_read2st64_b64 v[30:33], v187 offset0:40 offset1:42
	v_fmac_f64_e32 v[36:37], v[168:169], v[34:35]
	v_mul_f64 v[34:35], v[26:27], v[40:41]
	v_fmac_f64_e32 v[34:35], v[170:171], v[38:39]
	s_waitcnt vmcnt(11)
	v_mul_f64 v[26:27], v[172:173], v[52:53]
	v_fma_f64 v[168:169], v[28:29], v[50:51], -v[26:27]
	s_waitcnt vmcnt(10) lgkmcnt(0)
	v_mul_f64 v[26:27], v[30:31], v[48:49]
	v_mul_f64 v[38:39], v[28:29], v[52:53]
	v_fma_f64 v[170:171], v[22:23], v[46:47], -v[26:27]
	ds_read2st64_b64 v[26:29], v187 offset0:44 offset1:46
	v_mul_f64 v[40:41], v[22:23], v[48:49]
	s_waitcnt vmcnt(9)
	v_mul_f64 v[22:23], v[32:33], v[60:61]
	v_fmac_f64_e32 v[40:41], v[30:31], v[46:47]
	v_fma_f64 v[30:31], v[24:25], v[58:59], -v[22:23]
	v_mul_f64 v[42:43], v[24:25], v[60:61]
	ds_read2st64_b64 v[22:25], v187 offset0:48 offset1:50
	v_fmac_f64_e32 v[42:43], v[32:33], v[58:59]
	v_fmac_f64_e32 v[38:39], v[172:173], v[50:51]
	s_waitcnt vmcnt(8)
	v_mul_f64 v[48:49], v[20:21], v[96:97]
	s_waitcnt lgkmcnt(1)
	v_fmac_f64_e32 v[48:49], v[28:29], v[94:95]
	s_waitcnt vmcnt(7)
	v_mul_f64 v[32:33], v[26:27], v[56:57]
	v_fma_f64 v[32:33], v[18:19], v[54:55], -v[32:33]
	v_mul_f64 v[46:47], v[18:19], v[56:57]
	v_mul_f64 v[18:19], v[28:29], v[96:97]
	v_fmac_f64_e32 v[46:47], v[26:27], v[54:55]
	v_fma_f64 v[26:27], v[20:21], v[94:95], -v[18:19]
	s_waitcnt vmcnt(6) lgkmcnt(0)
	v_mul_f64 v[18:19], v[22:23], v[110:111]
	v_fma_f64 v[28:29], v[14:15], v[108:109], -v[18:19]
	ds_read2st64_b64 v[18:21], v187 offset0:52 offset1:54
	v_mul_f64 v[50:51], v[14:15], v[110:111]
	s_waitcnt vmcnt(5)
	v_mul_f64 v[14:15], v[24:25], v[114:115]
	v_fmac_f64_e32 v[50:51], v[22:23], v[108:109]
	v_fma_f64 v[22:23], v[16:17], v[112:113], -v[14:15]
	v_mul_f64 v[52:53], v[16:17], v[114:115]
	s_waitcnt vmcnt(4) lgkmcnt(0)
	v_mul_f64 v[14:15], v[18:19], v[118:119]
	v_fmac_f64_e32 v[52:53], v[24:25], v[112:113]
	v_fma_f64 v[24:25], v[10:11], v[116:117], -v[14:15]
	ds_read2st64_b64 v[14:17], v187 offset0:56 offset1:58
	v_mul_f64 v[54:55], v[10:11], v[118:119]
	s_waitcnt vmcnt(3)
	v_mul_f64 v[10:11], v[20:21], v[122:123]
	v_fmac_f64_e32 v[54:55], v[18:19], v[116:117]
	v_fma_f64 v[18:19], v[12:13], v[120:121], -v[10:11]
	v_mul_f64 v[56:57], v[12:13], v[122:123]
	s_waitcnt vmcnt(2) lgkmcnt(0)
	v_mul_f64 v[10:11], v[14:15], v[156:157]
	v_fmac_f64_e32 v[56:57], v[20:21], v[120:121]
	v_fma_f64 v[20:21], v[6:7], v[154:155], -v[10:11]
	ds_read2st64_b64 v[10:13], v187 offset1:30
	v_mul_f64 v[58:59], v[6:7], v[156:157]
	s_waitcnt vmcnt(1)
	v_mul_f64 v[6:7], v[16:17], v[160:161]
	v_fma_f64 v[6:7], v[8:9], v[158:159], -v[6:7]
	v_mul_f64 v[60:61], v[8:9], v[160:161]
	s_waitcnt vmcnt(0) lgkmcnt(0)
	v_mul_f64 v[8:9], v[12:13], v[164:165]
	v_fma_f64 v[8:9], v[4:5], v[162:163], -v[8:9]
	v_add_f64 v[8:9], v[2:3], -v[8:9]
	v_mul_f64 v[4:5], v[4:5], v[164:165]
	v_fma_f64 v[2:3], v[2:3], 2.0, -v[8:9]
	v_fmac_f64_e32 v[58:59], v[14:15], v[154:155]
	v_fmac_f64_e32 v[60:61], v[16:17], v[158:159]
	;; [unrolled: 1-line block ×3, first 2 shown]
	ds_read_b64 v[108:109], v192
	ds_read_b64 v[110:111], v143
	;; [unrolled: 1-line block ×14, first 2 shown]
	s_waitcnt lgkmcnt(0)
	s_barrier
	ds_write2_b64 v187, v[2:3], v[8:9] offset1:240
	v_mov_b32_e32 v2, 0xf00
	v_cndmask_b32_e64 v2, 0, v2, s[0:1]
	v_lshlrev_b32_e32 v3, 3, v82
	v_add3_u32 v82, 0, v2, v3
	v_add_f64 v[2:3], v[90:91], -v[98:99]
	v_fma_f64 v[8:9], v[90:91], 2.0, -v[2:3]
	ds_write2_b64 v82, v[8:9], v[2:3] offset1:240
	v_add_f64 v[2:3], v[86:87], -v[124:125]
	v_fma_f64 v[8:9], v[86:87], 2.0, -v[2:3]
	v_add_u32_e32 v124, 0xf80, v130
	ds_write2_b64 v124, v[8:9], v[2:3] offset1:240
	v_mul_u32_u24_e32 v2, 0xf00, v174
	v_lshlrev_b32_e32 v3, 3, v175
	v_add3_u32 v125, 0, v2, v3
	v_add_f64 v[2:3], v[92:93], -v[166:167]
	v_fma_f64 v[8:9], v[92:93], 2.0, -v[2:3]
	ds_write2_b64 v125, v[8:9], v[2:3] offset1:240
	v_add_f64 v[2:3], v[88:89], -v[168:169]
	v_lshl_add_u32 v12, v146, 3, 0
	v_fma_f64 v[8:9], v[88:89], 2.0, -v[2:3]
	v_add_u32_e32 v146, 0x1e00, v12
	ds_write2_b64 v146, v[8:9], v[2:3] offset1:240
	v_mul_u32_u24_e32 v2, 0xf00, v176
	v_lshlrev_b32_e32 v3, 3, v177
	v_add3_u32 v166, 0, v2, v3
	v_add_f64 v[2:3], v[80:81], -v[170:171]
	v_fma_f64 v[8:9], v[80:81], 2.0, -v[2:3]
	ds_write2_b64 v166, v[8:9], v[2:3] offset1:240
	v_add_f64 v[2:3], v[78:79], -v[30:31]
	v_lshl_add_u32 v12, v178, 3, 0
	;; [unrolled: 11-line block ×3, first 2 shown]
	v_add_f64 v[86:87], v[10:11], -v[4:5]
	v_fma_f64 v[4:5], v[68:69], 2.0, -v[2:3]
	v_add_u32_e32 v169, 0x3c00, v30
	ds_write2_b64 v169, v[4:5], v[2:3] offset1:240
	v_mul_u32_u24_e32 v2, 0xf00, v182
	v_lshlrev_b32_e32 v3, 3, v183
	v_add3_u32 v170, 0, v2, v3
	v_lshl_add_u32 v2, v184, 3, 0
	v_add_u32_e32 v171, 0x4b00, v2
	v_mul_u32_u24_e32 v2, 0xf00, v185
	v_lshlrev_b32_e32 v3, 3, v201
	v_add3_u32 v172, 0, v2, v3
	v_lshl_add_u32 v2, v202, 3, 0
	v_add_u32_e32 v173, 0x5a00, v2
	v_mul_u32_u24_e32 v2, 0xf00, v203
	v_lshlrev_b32_e32 v3, 3, v204
	v_add_f64 v[8:9], v[62:63], -v[28:29]
	v_add_f64 v[12:13], v[74:75], -v[22:23]
	;; [unrolled: 1-line block ×6, first 2 shown]
	v_add3_u32 v174, 0, v2, v3
	v_lshl_add_u32 v2, v205, 3, 0
	v_add_f64 v[44:45], v[108:109], -v[44:45]
	v_fma_f64 v[98:99], v[10:11], 2.0, -v[86:87]
	v_fma_f64 v[10:11], v[62:63], 2.0, -v[8:9]
	;; [unrolled: 1-line block ×7, first 2 shown]
	v_add_u32_e32 v175, 0x6900, v2
	v_fma_f64 v[62:63], v[108:109], 2.0, -v[44:45]
	v_add_f64 v[36:37], v[110:111], -v[36:37]
	ds_write2_b64 v170, v[10:11], v[8:9] offset1:240
	ds_write2_b64 v171, v[14:15], v[12:13] offset1:240
	;; [unrolled: 1-line block ×6, first 2 shown]
	s_waitcnt lgkmcnt(0)
	s_barrier
	ds_read2st64_b64 v[2:5], v187 offset1:30
	ds_read_b64 v[96:97], v192
	ds_read_b64 v[94:95], v143
	;; [unrolled: 1-line block ×14, first 2 shown]
	ds_read2st64_b64 v[30:33], v187 offset0:32 offset1:34
	ds_read2st64_b64 v[26:29], v187 offset0:36 offset1:38
	;; [unrolled: 1-line block ×7, first 2 shown]
	s_waitcnt lgkmcnt(0)
	s_barrier
	ds_write2_b64 v187, v[98:99], v[86:87] offset1:240
	ds_write2_b64 v82, v[62:63], v[44:45] offset1:240
	v_fma_f64 v[44:45], v[110:111], 2.0, -v[36:37]
	v_add_f64 v[34:35], v[154:155], -v[34:35]
	ds_write2_b64 v124, v[44:45], v[36:37] offset1:240
	v_fma_f64 v[36:37], v[154:155], 2.0, -v[34:35]
	ds_write2_b64 v125, v[36:37], v[34:35] offset1:240
	v_add_f64 v[34:35], v[122:123], -v[38:39]
	v_fma_f64 v[36:37], v[122:123], 2.0, -v[34:35]
	ds_write2_b64 v146, v[36:37], v[34:35] offset1:240
	v_add_f64 v[34:35], v[112:113], -v[40:41]
	;; [unrolled: 3-line block ×3, first 2 shown]
	v_add_f64 v[58:59], v[162:163], -v[58:59]
	v_fma_f64 v[36:37], v[114:115], 2.0, -v[34:35]
	v_add_f64 v[38:39], v[116:117], -v[46:47]
	v_add_f64 v[42:43], v[118:119], -v[48:49]
	;; [unrolled: 1-line block ×6, first 2 shown]
	v_fma_f64 v[98:99], v[162:163], 2.0, -v[58:59]
	v_add_f64 v[60:61], v[164:165], -v[60:61]
	v_fma_f64 v[40:41], v[116:117], 2.0, -v[38:39]
	v_fma_f64 v[44:45], v[118:119], 2.0, -v[42:43]
	;; [unrolled: 1-line block ×7, first 2 shown]
	ds_write2_b64 v167, v[36:37], v[34:35] offset1:240
	ds_write2_b64 v168, v[40:41], v[38:39] offset1:240
	;; [unrolled: 1-line block ×9, first 2 shown]
	v_add_co_u32_e64 v98, s[0:1], s3, v84
	v_lshl_add_u64 v[86:87], v[140:141], 4, s[4:5]
	s_nop 0
	v_addc_co_u32_e64 v99, s[0:1], 0, v85, s[0:1]
	v_add_co_u32_e64 v34, s[0:1], s3, v86
	v_lshl_add_u64 v[62:63], v[138:139], 4, s[4:5]
	s_nop 0
	v_addc_co_u32_e64 v35, s[0:1], 0, v87, s[0:1]
	v_add_co_u32_e64 v38, s[0:1], s3, v62
	v_add_u32_e32 v42, 0xffffffa0, v0
	s_nop 0
	v_addc_co_u32_e64 v39, s[0:1], 0, v63, s[0:1]
	v_cmp_gt_u32_e64 s[0:1], s6, v147
	s_waitcnt lgkmcnt(0)
	s_barrier
	v_cndmask_b32_e64 v82, v42, v147, s[0:1]
	v_lshl_add_u64 v[42:43], v[82:83], 4, s[4:5]
	v_add_co_u32_e64 v46, s[0:1], s3, v42
	s_nop 1
	v_addc_co_u32_e64 v47, s[0:1], 0, v43, s[0:1]
	s_movk_i32 s0, 0x2000
	global_load_dwordx4 v[34:37], v[34:35], off offset:3424
	s_nop 0
	global_load_dwordx4 v[38:41], v[38:39], off offset:3424
	v_add_co_u32_e64 v48, s[0:1], s0, v84
	global_load_dwordx4 v[42:45], v[98:99], off offset:3936
	s_nop 0
	v_addc_co_u32_e64 v49, s[0:1], 0, v85, s[0:1]
	global_load_dwordx4 v[50:53], v[46:47], off offset:3424
	s_nop 0
	global_load_dwordx4 v[46:49], v[48:49], off offset:1888
	v_add_u32_e32 v54, 0x1200, v128
	v_mov_b32_e32 v55, v83
	v_mul_lo_u16_sdwa v56, v100, s6 dst_sel:DWORD dst_unused:UNUSED_PAD src0_sel:BYTE_3 src1_sel:DWORD
	v_lshl_add_u64 v[54:55], s[4:5], 0, v[54:55]
	v_sub_u16_e32 v108, v131, v56
	v_add_co_u32_e64 v54, s[0:1], s3, v54
	v_lshlrev_b32_e32 v56, 4, v108
	v_mov_b32_e32 v57, v83
	v_addc_co_u32_e64 v55, s[0:1], 0, v55, s[0:1]
	v_lshl_add_u64 v[56:57], s[4:5], 0, v[56:57]
	v_add_co_u32_e64 v56, s[0:1], s3, v56
	v_sub_u16_e32 v109, v132, v106
	s_nop 0
	v_addc_co_u32_e64 v57, s[0:1], 0, v57, s[0:1]
	global_load_dwordx4 v[58:61], v[54:55], off offset:3424
	s_nop 0
	global_load_dwordx4 v[54:57], v[56:57], off offset:3424
	v_lshlrev_b32_e32 v110, 4, v109
	v_mov_b32_e32 v111, v83
	v_mul_lo_u16_sdwa v106, v107, s6 dst_sel:DWORD dst_unused:UNUSED_PAD src0_sel:BYTE_3 src1_sel:DWORD
	v_lshl_add_u64 v[110:111], s[4:5], 0, v[110:111]
	v_sub_u16_e32 v139, v133, v106
	v_add_co_u32_e64 v110, s[0:1], s3, v110
	v_lshlrev_b32_e32 v106, 4, v139
	v_mov_b32_e32 v107, v83
	v_addc_co_u32_e64 v111, s[0:1], 0, v111, s[0:1]
	v_lshl_add_u64 v[106:107], s[4:5], 0, v[106:107]
	v_add_co_u32_e64 v106, s[0:1], s3, v106
	v_sub_u16_e32 v141, v136, v105
	s_nop 0
	v_addc_co_u32_e64 v107, s[0:1], 0, v107, s[0:1]
	global_load_dwordx4 v[110:113], v[110:111], off offset:3424
	s_nop 0
	global_load_dwordx4 v[114:117], v[106:107], off offset:3424
	v_lshlrev_b32_e32 v106, 4, v141
	;; [unrolled: 17-line block ×3, first 2 shown]
	v_mov_b32_e32 v105, v83
	v_lshl_add_u64 v[104:105], s[4:5], 0, v[104:105]
	v_sub_u16_e32 v175, v135, v103
	v_add_co_u32_e64 v104, s[0:1], s3, v104
	v_lshlrev_b32_e32 v106, 4, v175
	v_mov_b32_e32 v107, v83
	v_addc_co_u32_e64 v105, s[0:1], 0, v105, s[0:1]
	v_lshl_add_u64 v[106:107], s[4:5], 0, v[106:107]
	v_add_co_u32_e64 v154, s[0:1], s3, v106
	v_sub_u16_e32 v176, v142, v102
	s_nop 0
	v_addc_co_u32_e64 v155, s[0:1], 0, v107, s[0:1]
	global_load_dwordx4 v[104:107], v[104:105], off offset:3424
	s_nop 0
	global_load_dwordx4 v[154:157], v[154:155], off offset:3424
	v_lshlrev_b32_e32 v102, 4, v176
	v_mov_b32_e32 v103, v83
	v_lshl_add_u64 v[102:103], s[4:5], 0, v[102:103]
	v_add_co_u32_e64 v102, s[0:1], s3, v102
	v_lshl_add_u32 v139, v139, 3, 0
	s_nop 0
	v_addc_co_u32_e64 v103, s[0:1], 0, v103, s[0:1]
	global_load_dwordx4 v[158:161], v[102:103], off offset:3424
	global_load_dwordx4 v[162:165], v[98:99], off offset:3424
	ds_read2st64_b64 v[166:169], v187 offset0:32 offset1:34
	ds_read2st64_b64 v[170:173], v187 offset0:36 offset1:38
	s_movk_i32 s0, 0x1df
	v_cmp_lt_u32_e64 s[0:1], s0, v147
	v_add_u32_e32 v147, 0x100, v130
	s_waitcnt vmcnt(14) lgkmcnt(1)
	v_mul_f64 v[98:99], v[166:167], v[36:37]
	v_mul_f64 v[36:37], v[30:31], v[36:37]
	v_fma_f64 v[98:99], v[30:31], v[34:35], -v[98:99]
	v_fmac_f64_e32 v[36:37], v[166:167], v[34:35]
	s_waitcnt vmcnt(13)
	v_mul_f64 v[30:31], v[168:169], v[40:41]
	v_mul_f64 v[34:35], v[32:33], v[40:41]
	v_fma_f64 v[102:103], v[32:33], v[38:39], -v[30:31]
	v_fmac_f64_e32 v[34:35], v[168:169], v[38:39]
	ds_read2st64_b64 v[30:33], v187 offset0:40 offset1:42
	s_waitcnt vmcnt(11) lgkmcnt(1)
	v_mul_f64 v[38:39], v[170:171], v[52:53]
	v_fma_f64 v[166:167], v[26:27], v[50:51], -v[38:39]
	v_mul_f64 v[38:39], v[26:27], v[52:53]
	v_fmac_f64_e32 v[38:39], v[170:171], v[50:51]
	ds_read2st64_b64 v[50:53], v187 offset0:44 offset1:46
	v_mul_f64 v[26:27], v[172:173], v[44:45]
	v_fma_f64 v[26:27], v[28:29], v[42:43], -v[26:27]
	v_mul_f64 v[40:41], v[28:29], v[44:45]
	s_waitcnt vmcnt(10) lgkmcnt(1)
	v_mul_f64 v[28:29], v[30:31], v[48:49]
	v_fmac_f64_e32 v[40:41], v[172:173], v[42:43]
	v_fma_f64 v[28:29], v[22:23], v[46:47], -v[28:29]
	v_mul_f64 v[42:43], v[22:23], v[48:49]
	s_waitcnt vmcnt(9)
	v_mul_f64 v[22:23], v[32:33], v[60:61]
	v_fmac_f64_e32 v[42:43], v[30:31], v[46:47]
	v_fma_f64 v[30:31], v[24:25], v[58:59], -v[22:23]
	v_mul_f64 v[44:45], v[24:25], v[60:61]
	s_waitcnt vmcnt(8) lgkmcnt(0)
	v_mul_f64 v[22:23], v[50:51], v[56:57]
	v_fmac_f64_e32 v[44:45], v[32:33], v[58:59]
	v_fma_f64 v[32:33], v[18:19], v[54:55], -v[22:23]
	ds_read2st64_b64 v[22:25], v187 offset0:48 offset1:50
	v_mul_f64 v[46:47], v[18:19], v[56:57]
	s_waitcnt vmcnt(7)
	v_mul_f64 v[18:19], v[52:53], v[112:113]
	v_fma_f64 v[168:169], v[20:21], v[110:111], -v[18:19]
	v_mul_f64 v[48:49], v[20:21], v[112:113]
	s_waitcnt vmcnt(6) lgkmcnt(0)
	v_mul_f64 v[18:19], v[22:23], v[116:117]
	v_fmac_f64_e32 v[48:49], v[52:53], v[110:111]
	v_fma_f64 v[110:111], v[14:15], v[114:115], -v[18:19]
	ds_read2st64_b64 v[18:21], v187 offset0:52 offset1:54
	v_fmac_f64_e32 v[46:47], v[50:51], v[54:55]
	v_mul_f64 v[50:51], v[14:15], v[116:117]
	v_fmac_f64_e32 v[50:51], v[22:23], v[114:115]
	v_lshl_add_u32 v141, v141, 3, 0
	s_movk_i32 s3, 0x3000
	s_waitcnt vmcnt(5)
	v_mul_f64 v[14:15], v[24:25], v[120:121]
	v_fma_f64 v[22:23], v[16:17], v[118:119], -v[14:15]
	v_mul_f64 v[52:53], v[16:17], v[120:121]
	s_waitcnt vmcnt(4) lgkmcnt(0)
	v_mul_f64 v[14:15], v[18:19], v[124:125]
	v_fmac_f64_e32 v[52:53], v[24:25], v[118:119]
	v_fma_f64 v[24:25], v[10:11], v[122:123], -v[14:15]
	ds_read2st64_b64 v[14:17], v187 offset0:56 offset1:58
	v_mul_f64 v[54:55], v[10:11], v[124:125]
	v_fmac_f64_e32 v[54:55], v[18:19], v[122:123]
	v_add_f64 v[22:23], v[78:79], -v[22:23]
	v_add_f64 v[24:25], v[74:75], -v[24:25]
	s_waitcnt vmcnt(3)
	v_mul_f64 v[10:11], v[20:21], v[106:107]
	v_fma_f64 v[18:19], v[12:13], v[104:105], -v[10:11]
	v_mul_f64 v[56:57], v[12:13], v[106:107]
	s_waitcnt vmcnt(2) lgkmcnt(0)
	v_mul_f64 v[10:11], v[14:15], v[156:157]
	v_fmac_f64_e32 v[56:57], v[20:21], v[104:105]
	v_fma_f64 v[20:21], v[6:7], v[154:155], -v[10:11]
	ds_read2st64_b64 v[10:13], v187 offset1:30
	v_mul_f64 v[58:59], v[6:7], v[156:157]
	v_fmac_f64_e32 v[58:59], v[14:15], v[154:155]
	s_waitcnt vmcnt(1)
	v_mul_f64 v[6:7], v[16:17], v[160:161]
	v_fma_f64 v[6:7], v[8:9], v[158:159], -v[6:7]
	v_mul_f64 v[60:61], v[8:9], v[160:161]
	s_waitcnt vmcnt(0) lgkmcnt(0)
	v_mul_f64 v[8:9], v[12:13], v[164:165]
	v_fma_f64 v[8:9], v[4:5], v[162:163], -v[8:9]
	v_add_f64 v[8:9], v[2:3], -v[8:9]
	v_mul_f64 v[4:5], v[4:5], v[164:165]
	v_fma_f64 v[2:3], v[2:3], 2.0, -v[8:9]
	v_fmac_f64_e32 v[60:61], v[16:17], v[158:159]
	v_fmac_f64_e32 v[4:5], v[12:13], v[162:163]
	ds_read_b64 v[104:105], v192
	ds_read_b64 v[106:107], v143
	;; [unrolled: 1-line block ×14, first 2 shown]
	s_waitcnt lgkmcnt(0)
	s_barrier
	ds_write_b64 v187, v[2:3]
	ds_write_b64 v187, v[8:9] offset:3840
	v_add_f64 v[2:3], v[96:97], -v[98:99]
	v_fma_f64 v[8:9], v[96:97], 2.0, -v[2:3]
	ds_write_b64 v192, v[8:9]
	ds_write_b64 v192, v[2:3] offset:3840
	v_add_f64 v[2:3], v[94:95], -v[102:103]
	v_fma_f64 v[8:9], v[94:95], 2.0, -v[2:3]
	ds_write_b64 v143, v[8:9]
	ds_write_b64 v143, v[2:3] offset:3840
	v_mov_b32_e32 v2, 0x1e00
	v_cndmask_b32_e64 v2, 0, v2, s[0:1]
	v_lshlrev_b32_e32 v3, 3, v82
	v_add3_u32 v82, 0, v2, v3
	v_add_f64 v[2:3], v[92:93], -v[166:167]
	v_fma_f64 v[8:9], v[92:93], 2.0, -v[2:3]
	ds_write_b64 v82, v[8:9]
	ds_write_b64 v82, v[2:3] offset:3840
	v_add_f64 v[2:3], v[90:91], -v[26:27]
	v_add_f64 v[12:13], v[88:89], -v[28:29]
	v_fma_f64 v[8:9], v[90:91], 2.0, -v[2:3]
	v_fma_f64 v[14:15], v[88:89], 2.0, -v[12:13]
	ds_write2st64_b64 v147, v[8:9], v[14:15] offset0:15 offset1:17
	v_add_f64 v[8:9], v[80:81], -v[30:31]
	v_fma_f64 v[14:15], v[80:81], 2.0, -v[8:9]
	v_add_u32_e32 v164, 0x2700, v130
	s_movk_i32 s0, 0x1e00
	ds_write2_b64 v164, v[14:15], v[2:3] offset1:224
	v_add_f64 v[2:3], v[70:71], -v[32:33]
	ds_write2st64_b64 v130, v[12:13], v[8:9] offset0:25 offset1:27
	v_mul_u32_u24_sdwa v8, v100, s0 dst_sel:DWORD dst_unused:UNUSED_PAD src0_sel:BYTE_3 src1_sel:DWORD
	v_lshlrev_b32_e32 v9, 3, v108
	v_add_f64 v[88:89], v[10:11], -v[4:5]
	v_fma_f64 v[4:5], v[70:71], 2.0, -v[2:3]
	v_add_f64 v[16:17], v[64:65], -v[110:111]
	v_add3_u32 v110, 0, v8, v9
	v_fma_f64 v[102:103], v[10:11], 2.0, -v[88:89]
	v_add_f64 v[10:11], v[72:73], -v[168:169]
	v_add_f64 v[18:19], v[76:77], -v[18:19]
	;; [unrolled: 1-line block ×3, first 2 shown]
	ds_write_b64 v110, v[4:5]
	ds_write_b64 v110, v[2:3] offset:3840
	v_mul_u32_u24_sdwa v2, v101, s0 dst_sel:DWORD dst_unused:UNUSED_PAD src0_sel:BYTE_3 src1_sel:DWORD
	v_lshlrev_b32_e32 v3, 3, v146
	v_fma_f64 v[14:15], v[72:73], 2.0, -v[10:11]
	v_fma_f64 v[26:27], v[64:65], 2.0, -v[16:17]
	;; [unrolled: 1-line block ×6, first 2 shown]
	v_add_f64 v[6:7], v[68:69], -v[6:7]
	v_lshl_add_u32 v111, v109, 3, 0
	v_add3_u32 v146, 0, v2, v3
	v_lshl_add_u32 v165, v174, 3, 0
	v_lshl_add_u32 v166, v175, 3, 0
	v_add_f64 v[36:37], v[104:105], -v[36:37]
	v_fma_f64 v[66:67], v[68:69], 2.0, -v[6:7]
	ds_write_b64 v111, v[14:15] offset:15360
	ds_write_b64 v111, v[10:11] offset:19200
	;; [unrolled: 1-line block ×6, first 2 shown]
	ds_write_b64 v146, v[30:31]
	ds_write_b64 v146, v[24:25] offset:3840
	ds_write_b64 v165, v[32:33] offset:23040
	;; [unrolled: 1-line block ×5, first 2 shown]
	v_lshl_add_u32 v167, v176, 3, 0
	v_fma_f64 v[64:65], v[104:105], 2.0, -v[36:37]
	v_add_f64 v[34:35], v[106:107], -v[34:35]
	ds_write_b64 v167, v[66:67] offset:23040
	ds_write_b64 v167, v[6:7] offset:26880
	s_waitcnt lgkmcnt(0)
	s_barrier
	ds_read2st64_b64 v[2:5], v187 offset1:30
	ds_read2st64_b64 v[26:29], v187 offset0:32 offset1:34
	ds_read_b64 v[96:97], v192
	ds_read_b64 v[94:95], v143
	ds_read2st64_b64 v[22:25], v187 offset0:36 offset1:38
	ds_read_b64 v[80:81], v188
	ds_read_b64 v[90:91], v193
	;; [unrolled: 1-line block ×12, first 2 shown]
	ds_read2st64_b64 v[30:33], v187 offset0:40 offset1:42
	ds_read2st64_b64 v[18:21], v187 offset0:44 offset1:46
	;; [unrolled: 1-line block ×5, first 2 shown]
	s_waitcnt lgkmcnt(0)
	s_barrier
	ds_write_b64 v187, v[102:103]
	ds_write_b64 v187, v[88:89] offset:3840
	ds_write_b64 v192, v[64:65]
	ds_write_b64 v192, v[36:37] offset:3840
	v_fma_f64 v[36:37], v[106:107], 2.0, -v[34:35]
	ds_write_b64 v143, v[36:37]
	ds_write_b64 v143, v[34:35] offset:3840
	v_add_f64 v[34:35], v[124:125], -v[38:39]
	v_fma_f64 v[36:37], v[124:125], 2.0, -v[34:35]
	ds_write_b64 v82, v[36:37]
	ds_write_b64 v82, v[34:35] offset:3840
	v_add_f64 v[34:35], v[122:123], -v[40:41]
	v_add_f64 v[38:39], v[112:113], -v[42:43]
	v_fma_f64 v[36:37], v[122:123], 2.0, -v[34:35]
	v_fma_f64 v[40:41], v[112:113], 2.0, -v[38:39]
	ds_write2st64_b64 v147, v[36:37], v[40:41] offset0:15 offset1:17
	v_add_f64 v[36:37], v[114:115], -v[44:45]
	v_fma_f64 v[40:41], v[114:115], 2.0, -v[36:37]
	v_add_f64 v[42:43], v[116:117], -v[46:47]
	v_add_f64 v[46:47], v[118:119], -v[48:49]
	;; [unrolled: 1-line block ×8, first 2 shown]
	v_fma_f64 v[44:45], v[116:117], 2.0, -v[42:43]
	v_fma_f64 v[48:49], v[118:119], 2.0, -v[46:47]
	;; [unrolled: 1-line block ×8, first 2 shown]
	ds_write2_b64 v164, v[40:41], v[34:35] offset1:224
	ds_write2st64_b64 v130, v[38:39], v[36:37] offset0:25 offset1:27
	ds_write_b64 v110, v[44:45]
	ds_write_b64 v110, v[42:43] offset:3840
	ds_write_b64 v111, v[48:49] offset:15360
	ds_write_b64 v111, v[46:47] offset:19200
	ds_write_b64 v139, v[64:65] offset:15360
	ds_write_b64 v139, v[50:51] offset:19200
	ds_write_b64 v141, v[88:89] offset:15360
	ds_write_b64 v141, v[52:53] offset:19200
	ds_write_b64 v146, v[102:103]
	ds_write_b64 v146, v[54:55] offset:3840
	ds_write_b64 v165, v[104:105] offset:23040
	;; [unrolled: 1-line block ×7, first 2 shown]
	v_add_co_u32_e64 v34, s[0:1], s3, v86
	v_lshl_add_u64 v[58:59], v[152:153], 4, s[4:5]
	s_nop 0
	v_addc_co_u32_e64 v35, s[0:1], 0, v87, s[0:1]
	v_add_co_u32_e64 v36, s[0:1], s3, v62
	v_lshl_add_u64 v[60:61], v[150:151], 4, s[4:5]
	s_nop 0
	v_addc_co_u32_e64 v37, s[0:1], 0, v63, s[0:1]
	;; [unrolled: 4-line block ×3, first 2 shown]
	v_add_co_u32_e64 v44, s[0:1], s3, v60
	s_waitcnt lgkmcnt(0)
	s_nop 0
	v_addc_co_u32_e64 v45, s[0:1], 0, v61, s[0:1]
	s_barrier
	global_load_dwordx4 v[38:41], v[34:35], off offset:2912
	s_nop 0
	global_load_dwordx4 v[34:37], v[36:37], off offset:2912
	s_nop 0
	global_load_dwordx4 v[50:53], v[42:43], off offset:2912
	global_load_dwordx4 v[46:49], v[44:45], off offset:2912
	v_add_co_u32_e64 v42, s[0:1], s3, v64
	v_lshl_add_u64 v[88:89], v[148:149], 4, s[4:5]
	s_nop 0
	v_addc_co_u32_e64 v43, s[0:1], 0, v65, s[0:1]
	v_add_co_u32_e64 v44, s[0:1], s3, v88
	s_nop 1
	v_addc_co_u32_e64 v45, s[0:1], 0, v89, s[0:1]
	global_load_dwordx4 v[102:105], v[42:43], off offset:2912
	global_load_dwordx4 v[106:109], v[44:45], off offset:2912
	v_add_u32_e32 v42, 0xfffffc40, v131
	v_cmp_gt_u32_e64 s[0:1], s2, v131
	s_nop 1
	v_cndmask_b32_e64 v82, v42, v131, s[0:1]
	v_lshl_add_u64 v[42:43], v[82:83], 4, s[4:5]
	v_add_co_u32_e64 v110, s[0:1], s3, v42
	s_nop 1
	v_addc_co_u32_e64 v111, s[0:1], 0, v43, s[0:1]
	v_add_co_u32_e64 v42, s[0:1], s3, v84
	s_nop 1
	v_addc_co_u32_e64 v43, s[0:1], 0, v85, s[0:1]
	s_movk_i32 s0, 0x4000
	s_nop 0
	v_add_co_u32_e64 v112, s[0:1], s0, v84
	global_load_dwordx4 v[54:57], v[42:43], off offset:3936
	s_nop 0
	global_load_dwordx4 v[42:45], v[42:43], off offset:2912
	v_addc_co_u32_e64 v113, s[0:1], 0, v85, s[0:1]
	global_load_dwordx4 v[114:117], v[110:111], off offset:2912
	global_load_dwordx4 v[118:121], v[112:113], off offset:1888
	v_add_u32_e32 v110, 0x1400, v128
	v_mov_b32_e32 v111, v83
	v_lshl_add_u64 v[110:111], s[4:5], 0, v[110:111]
	v_add_co_u32_e64 v110, s[0:1], s3, v110
	v_add_u32_e32 v112, 0x1c00, v128
	v_mov_b32_e32 v113, v83
	v_addc_co_u32_e64 v111, s[0:1], 0, v111, s[0:1]
	v_lshl_add_u64 v[112:113], s[4:5], 0, v[112:113]
	v_add_co_u32_e64 v112, s[0:1], s3, v112
	s_nop 1
	v_addc_co_u32_e64 v113, s[0:1], 0, v113, s[0:1]
	global_load_dwordx4 v[122:125], v[110:111], off offset:2912
	global_load_dwordx4 v[144:147], v[112:113], off offset:2912
	v_add_u32_e32 v110, 0x2400, v128
	v_mov_b32_e32 v111, v83
	v_lshl_add_u64 v[110:111], s[4:5], 0, v[110:111]
	v_add_co_u32_e64 v110, s[0:1], s3, v110
	s_waitcnt vmcnt(3)
	v_mul_f64 v[112:113], v[18:19], v[116:117]
	v_addc_co_u32_e64 v111, s[0:1], 0, v111, s[0:1]
	global_load_dwordx4 v[148:151], v[110:111], off offset:2912
	v_add_u32_e32 v110, 0x2c00, v128
	v_mov_b32_e32 v111, v83
	v_lshl_add_u64 v[110:111], s[4:5], 0, v[110:111]
	v_add_co_u32_e64 v110, s[0:1], s3, v110
	s_nop 1
	v_addc_co_u32_e64 v111, s[0:1], 0, v111, s[0:1]
	global_load_dwordx4 v[152:155], v[110:111], off offset:2912
	v_add_u32_e32 v110, 0x3400, v128
	v_mov_b32_e32 v111, v83
	v_lshl_add_u64 v[110:111], s[4:5], 0, v[110:111]
	v_add_co_u32_e64 v110, s[0:1], s3, v110
	s_nop 1
	v_addc_co_u32_e64 v111, s[0:1], 0, v111, s[0:1]
	global_load_dwordx4 v[156:159], v[110:111], off offset:2912
	ds_read2st64_b64 v[160:163], v187 offset0:32 offset1:34
	ds_read2st64_b64 v[164:167], v187 offset0:36 offset1:38
	;; [unrolled: 1-line block ×3, first 2 shown]
	s_movk_i32 s0, 0x3bf
	v_cmp_lt_u32_e64 s[0:1], s0, v131
	s_waitcnt lgkmcnt(2)
	v_mul_f64 v[110:111], v[160:161], v[40:41]
	v_fma_f64 v[172:173], v[26:27], v[38:39], -v[110:111]
	v_mul_f64 v[110:111], v[26:27], v[40:41]
	v_mul_f64 v[26:27], v[162:163], v[36:37]
	v_fmac_f64_e32 v[110:111], v[160:161], v[38:39]
	v_fma_f64 v[38:39], v[28:29], v[34:35], -v[26:27]
	v_mul_f64 v[36:37], v[28:29], v[36:37]
	ds_read2st64_b64 v[26:29], v187 offset0:44 offset1:46
	v_fmac_f64_e32 v[36:37], v[162:163], v[34:35]
	s_waitcnt lgkmcnt(2)
	v_mul_f64 v[34:35], v[164:165], v[52:53]
	v_fma_f64 v[40:41], v[22:23], v[50:51], -v[34:35]
	v_mul_f64 v[34:35], v[22:23], v[52:53]
	v_mul_f64 v[22:23], v[166:167], v[48:49]
	v_fmac_f64_e32 v[34:35], v[164:165], v[50:51]
	v_fma_f64 v[50:51], v[24:25], v[46:47], -v[22:23]
	v_mul_f64 v[48:49], v[24:25], v[48:49]
	s_waitcnt lgkmcnt(1)
	v_mul_f64 v[22:23], v[168:169], v[104:105]
	v_fmac_f64_e32 v[48:49], v[166:167], v[46:47]
	v_fma_f64 v[46:47], v[30:31], v[102:103], -v[22:23]
	v_mul_f64 v[22:23], v[170:171], v[108:109]
	v_mul_f64 v[30:31], v[30:31], v[104:105]
	v_fma_f64 v[52:53], v[32:33], v[106:107], -v[22:23]
	s_waitcnt lgkmcnt(0)
	v_mul_f64 v[22:23], v[26:27], v[116:117]
	v_fmac_f64_e32 v[30:31], v[168:169], v[102:103]
	v_fma_f64 v[102:103], v[18:19], v[114:115], -v[22:23]
	ds_read2st64_b64 v[22:25], v187 offset0:48 offset1:50
	v_mul_f64 v[18:19], v[28:29], v[56:57]
	v_fmac_f64_e32 v[112:113], v[26:27], v[114:115]
	v_fma_f64 v[26:27], v[20:21], v[54:55], -v[18:19]
	v_mul_f64 v[56:57], v[20:21], v[56:57]
	s_waitcnt vmcnt(5) lgkmcnt(0)
	v_mul_f64 v[18:19], v[22:23], v[120:121]
	v_fmac_f64_e32 v[56:57], v[28:29], v[54:55]
	v_fma_f64 v[28:29], v[14:15], v[118:119], -v[18:19]
	ds_read2st64_b64 v[18:21], v187 offset0:52 offset1:54
	v_mul_f64 v[114:115], v[14:15], v[120:121]
	s_waitcnt vmcnt(4)
	v_mul_f64 v[14:15], v[24:25], v[124:125]
	v_mul_f64 v[116:117], v[16:17], v[124:125]
	v_fmac_f64_e32 v[114:115], v[22:23], v[118:119]
	v_fma_f64 v[22:23], v[16:17], v[122:123], -v[14:15]
	v_fmac_f64_e32 v[116:117], v[24:25], v[122:123]
	ds_read2st64_b64 v[14:17], v187 offset1:30
	s_waitcnt vmcnt(3) lgkmcnt(1)
	v_mul_f64 v[24:25], v[18:19], v[146:147]
	v_fma_f64 v[24:25], v[10:11], v[144:145], -v[24:25]
	v_mul_f64 v[118:119], v[10:11], v[146:147]
	v_fmac_f64_e32 v[118:119], v[18:19], v[144:145]
	ds_read_b64 v[124:125], v192
	ds_read_b64 v[122:123], v143
	;; [unrolled: 1-line block ×3, first 2 shown]
	v_mul_f64 v[32:33], v[32:33], v[108:109]
	v_fmac_f64_e32 v[32:33], v[170:171], v[106:107]
	v_add_f64 v[26:27], v[74:75], -v[26:27]
	v_fma_f64 v[54:55], v[74:75], 2.0, -v[26:27]
	v_add_f64 v[28:29], v[66:67], -v[28:29]
	v_add_f64 v[22:23], v[92:93], -v[22:23]
	;; [unrolled: 1-line block ×3, first 2 shown]
	v_fma_f64 v[66:67], v[66:67], 2.0, -v[28:29]
	v_fma_f64 v[74:75], v[76:77], 2.0, -v[24:25]
	s_waitcnt lgkmcnt(1)
	v_add_f64 v[36:37], v[122:123], -v[36:37]
	s_waitcnt lgkmcnt(0)
	v_add_f64 v[30:31], v[144:145], -v[30:31]
	s_waitcnt vmcnt(2)
	v_mul_f64 v[10:11], v[20:21], v[150:151]
	v_fma_f64 v[18:19], v[12:13], v[148:149], -v[10:11]
	v_mul_f64 v[120:121], v[12:13], v[150:151]
	ds_read2st64_b64 v[10:13], v187 offset0:56 offset1:58
	v_fmac_f64_e32 v[120:121], v[20:21], v[148:149]
	v_mul_f64 v[20:21], v[16:17], v[44:45]
	v_fma_f64 v[20:21], v[4:5], v[42:43], -v[20:21]
	v_mul_f64 v[4:5], v[4:5], v[44:45]
	v_fmac_f64_e32 v[4:5], v[16:17], v[42:43]
	s_waitcnt vmcnt(1) lgkmcnt(0)
	v_mul_f64 v[16:17], v[10:11], v[154:155]
	v_fma_f64 v[16:17], v[6:7], v[152:153], -v[16:17]
	v_mul_f64 v[42:43], v[6:7], v[154:155]
	v_fmac_f64_e32 v[42:43], v[10:11], v[152:153]
	ds_read_b64 v[146:147], v193
	ds_read_b64 v[148:149], v194
	;; [unrolled: 1-line block ×4, first 2 shown]
	v_add_f64 v[168:169], v[14:15], -v[4:5]
	v_fma_f64 v[170:171], v[14:15], 2.0, -v[168:169]
	v_add_f64 v[18:19], v[78:79], -v[18:19]
	v_add_f64 v[16:17], v[68:69], -v[16:17]
	s_waitcnt vmcnt(0)
	v_mul_f64 v[6:7], v[12:13], v[158:159]
	v_fma_f64 v[6:7], v[8:9], v[156:157], -v[6:7]
	v_mul_f64 v[44:45], v[8:9], v[158:159]
	v_add_f64 v[8:9], v[2:3], -v[20:21]
	v_fma_f64 v[2:3], v[2:3], 2.0, -v[8:9]
	v_fmac_f64_e32 v[44:45], v[12:13], v[156:157]
	ds_read_b64 v[154:155], v190
	ds_read_b64 v[156:157], v189
	;; [unrolled: 1-line block ×7, first 2 shown]
	s_waitcnt lgkmcnt(0)
	s_barrier
	ds_write2st64_b64 v187, v[2:3], v[8:9] offset1:15
	v_add_f64 v[2:3], v[96:97], -v[172:173]
	v_fma_f64 v[8:9], v[96:97], 2.0, -v[2:3]
	ds_write2st64_b64 v192, v[8:9], v[2:3] offset1:15
	v_add_f64 v[2:3], v[94:95], -v[38:39]
	v_fma_f64 v[4:5], v[94:95], 2.0, -v[2:3]
	v_add_f64 v[8:9], v[100:101], -v[40:41]
	v_add_f64 v[12:13], v[98:99], -v[50:51]
	;; [unrolled: 1-line block ×4, first 2 shown]
	v_fma_f64 v[10:11], v[100:101], 2.0, -v[8:9]
	v_fma_f64 v[14:15], v[98:99], 2.0, -v[12:13]
	;; [unrolled: 1-line block ×4, first 2 shown]
	ds_write2st64_b64 v143, v[4:5], v[2:3] offset1:15
	ds_write2st64_b64 v189, v[10:11], v[8:9] offset1:15
	;; [unrolled: 1-line block ×5, first 2 shown]
	v_mov_b32_e32 v2, 0x3c00
	v_add_f64 v[50:51], v[72:73], -v[102:103]
	v_cndmask_b32_e64 v2, 0, v2, s[0:1]
	v_lshlrev_b32_e32 v3, 3, v82
	v_fma_f64 v[52:53], v[72:73], 2.0, -v[50:51]
	v_add_f64 v[6:7], v[70:71], -v[6:7]
	v_add3_u32 v82, 0, v2, v3
	v_fma_f64 v[72:73], v[92:93], 2.0, -v[22:23]
	v_fma_f64 v[76:77], v[78:79], 2.0, -v[18:19]
	;; [unrolled: 1-line block ×4, first 2 shown]
	ds_write2st64_b64 v82, v[52:53], v[50:51] offset1:15
	ds_write2st64_b64 v130, v[54:55], v[66:67] offset0:31 offset1:33
	ds_write2st64_b64 v130, v[28:29], v[22:23] offset0:48 offset1:50
	;; [unrolled: 1-line block ×7, first 2 shown]
	s_waitcnt lgkmcnt(0)
	s_barrier
	ds_read2st64_b64 v[2:5], v187 offset1:30
	ds_read2st64_b64 v[6:9], v187 offset0:32 offset1:34
	ds_read_b64 v[90:91], v192
	ds_read_b64 v[92:93], v143
	ds_read2st64_b64 v[10:13], v187 offset0:36 offset1:38
	ds_read_b64 v[96:97], v188
	ds_read2st64_b64 v[14:17], v187 offset0:40 offset1:42
	ds_read2st64_b64 v[18:21], v187 offset0:44 offset1:46
	ds_read_b64 v[100:101], v193
	ds_read_b64 v[102:103], v194
	;; [unrolled: 1-line block ×4, first 2 shown]
	ds_read2st64_b64 v[22:25], v187 offset0:48 offset1:50
	ds_read_b64 v[98:99], v190
	ds_read_b64 v[94:95], v189
	;; [unrolled: 1-line block ×7, first 2 shown]
	ds_read2st64_b64 v[50:53], v187 offset0:52 offset1:54
	ds_read2st64_b64 v[26:29], v187 offset0:56 offset1:58
	v_add_f64 v[66:67], v[124:125], -v[110:111]
	v_fma_f64 v[68:69], v[124:125], 2.0, -v[66:67]
	s_waitcnt lgkmcnt(0)
	s_barrier
	ds_write2st64_b64 v187, v[170:171], v[168:169] offset1:15
	ds_write2st64_b64 v192, v[68:69], v[66:67] offset1:15
	v_fma_f64 v[66:67], v[122:123], 2.0, -v[36:37]
	v_add_f64 v[34:35], v[156:157], -v[34:35]
	v_add_f64 v[48:49], v[154:155], -v[48:49]
	v_add_f64 v[32:33], v[146:147], -v[32:33]
	v_add_f64 v[76:77], v[148:149], -v[112:113]
	v_add_f64 v[56:57], v[150:151], -v[56:57]
	v_add_f64 v[110:111], v[152:153], -v[114:115]
	v_add_f64 v[114:115], v[158:159], -v[116:117]
	v_add_f64 v[118:119], v[160:161], -v[118:119]
	v_add_f64 v[120:121], v[162:163], -v[120:121]
	v_add_f64 v[42:43], v[164:165], -v[42:43]
	v_add_f64 v[44:45], v[166:167], -v[44:45]
	v_fma_f64 v[68:69], v[156:157], 2.0, -v[34:35]
	v_fma_f64 v[70:71], v[154:155], 2.0, -v[48:49]
	;; [unrolled: 1-line block ×12, first 2 shown]
	ds_write2st64_b64 v143, v[66:67], v[36:37] offset1:15
	ds_write2st64_b64 v189, v[68:69], v[34:35] offset1:15
	;; [unrolled: 1-line block ×6, first 2 shown]
	ds_write2st64_b64 v130, v[80:81], v[112:113] offset0:31 offset1:33
	ds_write2st64_b64 v130, v[110:111], v[114:115] offset0:48 offset1:50
	;; [unrolled: 1-line block ×7, first 2 shown]
	s_waitcnt lgkmcnt(0)
	s_barrier
	s_and_saveexec_b64 s[0:1], vcc
	s_cbranch_execz .LBB0_15
; %bb.14:
	v_mov_b32_e32 v143, v83
	v_lshl_add_u64 v[30:31], v[142:143], 4, s[4:5]
	v_add_co_u32_e32 v30, vcc, 0x7000, v30
	v_mov_b32_e32 v82, v135
	v_mov_b32_e32 v135, v83
	s_movk_i32 s0, 0x7000
	v_addc_co_u32_e32 v31, vcc, 0, v31, vcc
	v_lshl_add_u64 v[34:35], v[134:135], 4, s[4:5]
	v_add_co_u32_e32 v34, vcc, s0, v34
	v_lshl_add_u64 v[42:43], v[82:83], 4, s[4:5]
	s_nop 0
	v_addc_co_u32_e32 v35, vcc, 0, v35, vcc
	v_add_co_u32_e32 v42, vcc, s0, v42
	global_load_dwordx4 v[30:33], v[30:31], off offset:1888
	s_nop 0
	v_addc_co_u32_e32 v43, vcc, 0, v43, vcc
	global_load_dwordx4 v[34:37], v[34:35], off offset:1888
	v_mov_b32_e32 v82, v137
	global_load_dwordx4 v[42:45], v[42:43], off offset:1888
	v_lshl_add_u64 v[48:49], v[82:83], 4, s[4:5]
	v_add_co_u32_e32 v48, vcc, s0, v48
	v_mov_b32_e32 v137, v83
	s_nop 0
	v_addc_co_u32_e32 v49, vcc, 0, v49, vcc
	global_load_dwordx4 v[110:113], v[48:49], off offset:1888
	v_lshl_add_u64 v[48:49], v[136:137], 4, s[4:5]
	v_add_co_u32_e32 v48, vcc, s0, v48
	v_mov_b32_e32 v82, v133
	s_nop 0
	v_addc_co_u32_e32 v49, vcc, 0, v49, vcc
	global_load_dwordx4 v[66:69], v[48:49], off offset:1888
	v_lshl_add_u64 v[70:71], v[82:83], 4, s[4:5]
	v_add_co_u32_e32 v70, vcc, s0, v70
	ds_read2st64_b64 v[114:117], v187 offset0:56 offset1:58
	ds_read2st64_b64 v[118:121], v187 offset0:52 offset1:54
	ds_read_b64 v[56:57], v200
	ds_read_b64 v[122:123], v199
	;; [unrolled: 1-line block ×4, first 2 shown]
	v_addc_co_u32_e32 v71, vcc, 0, v71, vcc
	global_load_dwordx4 v[78:81], v[70:71], off offset:1888
	v_mov_b32_e32 v133, v83
	v_lshl_add_u64 v[72:73], v[132:133], 4, s[4:5]
	v_mov_b32_e32 v82, v131
	v_add_co_u32_e32 v70, vcc, s0, v72
	v_mul_i32_i24_e32 v152, 0xffffffb8, v140
	s_nop 0
	v_addc_co_u32_e32 v71, vcc, 0, v73, vcc
	v_lshl_add_u64 v[72:73], v[82:83], 4, s[4:5]
	v_add_co_u32_e32 v72, vcc, s0, v72
	v_mul_i32_i24_e32 v153, 0xffffffb8, v138
	s_nop 0
	v_addc_co_u32_e32 v73, vcc, 0, v73, vcc
	global_load_dwordx4 v[74:77], v[70:71], off offset:1888
	s_nop 0
	global_load_dwordx4 v[70:73], v[72:73], off offset:1888
	v_lshl_add_u64 v[0:1], v[0:1], 4, v[126:127]
	v_or_b32_e32 v82, 0x8000, v128
	s_waitcnt vmcnt(7) lgkmcnt(5)
	v_mul_f64 v[132:133], v[30:31], v[116:117]
	v_mul_f64 v[116:117], v[32:33], v[116:117]
	v_fmac_f64_e32 v[132:133], v[28:29], v[32:33]
	s_waitcnt vmcnt(6) lgkmcnt(4)
	v_mul_f64 v[130:131], v[34:35], v[120:121]
	v_mul_f64 v[120:121], v[36:37], v[120:121]
	s_waitcnt vmcnt(5)
	v_mul_f64 v[134:135], v[42:43], v[114:115]
	v_mul_f64 v[114:115], v[44:45], v[114:115]
	v_fma_f64 v[30:31], v[28:29], v[30:31], -v[116:117]
	v_fma_f64 v[32:33], v[26:27], v[42:43], -v[114:115]
	s_waitcnt lgkmcnt(3)
	v_add_f64 v[28:29], v[56:57], -v[132:133]
	v_fmac_f64_e32 v[130:131], v[52:53], v[36:37]
	v_fma_f64 v[52:53], v[52:53], v[34:35], -v[120:121]
	v_add_f64 v[34:35], v[38:39], -v[32:33]
	v_fma_f64 v[32:33], v[56:57], 2.0, -v[28:29]
	v_add_co_u32_e32 v56, vcc, s0, v88
	v_add_f64 v[42:43], v[46:47], -v[52:53]
	s_nop 0
	v_addc_co_u32_e32 v57, vcc, 0, v89, vcc
	v_add_co_u32_e32 v64, vcc, s0, v64
	global_load_dwordx4 v[114:117], v[56:57], off offset:1888
	s_nop 0
	v_addc_co_u32_e32 v65, vcc, 0, v65, vcc
	v_add_co_u32_e32 v60, vcc, s0, v60
	s_waitcnt vmcnt(5)
	v_mul_f64 v[52:53], v[110:111], v[118:119]
	v_addc_co_u32_e32 v61, vcc, 0, v61, vcc
	v_fmac_f64_e32 v[134:135], v[26:27], v[44:45]
	v_fmac_f64_e32 v[52:53], v[50:51], v[112:113]
	v_add_co_u32_e32 v58, vcc, s0, v58
	v_add_f64 v[26:27], v[40:41], -v[30:31]
	s_waitcnt lgkmcnt(2)
	v_add_f64 v[36:37], v[122:123], -v[134:135]
	s_waitcnt lgkmcnt(0)
	v_add_f64 v[52:53], v[124:125], -v[52:53]
	v_mul_f64 v[88:89], v[112:113], v[118:119]
	global_load_dwordx4 v[118:121], v[64:65], off offset:1888
	v_addc_co_u32_e32 v59, vcc, 0, v59, vcc
	v_add_f64 v[44:45], v[48:49], -v[130:131]
	v_fma_f64 v[30:31], v[40:41], 2.0, -v[26:27]
	v_fma_f64 v[40:41], v[122:123], 2.0, -v[36:37]
	global_load_dwordx4 v[130:133], v[58:59], off offset:1888
	v_fma_f64 v[56:57], v[124:125], 2.0, -v[52:53]
	global_load_dwordx4 v[122:125], v[60:61], off offset:1888
	v_fma_f64 v[50:51], v[50:51], v[110:111], -v[88:89]
	ds_read2st64_b64 v[110:113], v187 offset0:48 offset1:50
	v_add_co_u32_e32 v62, vcc, s0, v62
	ds_read_b64 v[64:65], v191
	s_nop 0
	v_addc_co_u32_e32 v63, vcc, 0, v63, vcc
	ds_read_b64 v[146:147], v190
	ds_read_b64 v[148:149], v189
	;; [unrolled: 1-line block ×3, first 2 shown]
	global_load_dwordx4 v[134:137], v[62:63], off offset:1888
	s_waitcnt vmcnt(8) lgkmcnt(4)
	v_mul_f64 v[60:61], v[66:67], v[112:113]
	v_mul_f64 v[58:59], v[68:69], v[112:113]
	v_fmac_f64_e32 v[60:61], v[24:25], v[68:69]
	v_fma_f64 v[24:25], v[24:25], v[66:67], -v[58:59]
	ds_read_b64 v[66:67], v196
	v_add_co_u32_e32 v68, vcc, s0, v86
	v_add_f64 v[58:59], v[108:109], -v[24:25]
	s_waitcnt vmcnt(7)
	v_mul_f64 v[24:25], v[78:79], v[110:111]
	v_addc_co_u32_e32 v69, vcc, 0, v87, vcc
	global_load_dwordx4 v[86:89], v[68:69], off offset:1888
	v_fmac_f64_e32 v[24:25], v[22:23], v[80:81]
	v_fma_f64 v[62:63], v[108:109], 2.0, -v[58:59]
	ds_read_b64 v[108:109], v195
	s_waitcnt lgkmcnt(1)
	v_add_f64 v[24:25], v[66:67], -v[24:25]
	v_fma_f64 v[68:69], v[66:67], 2.0, -v[24:25]
	v_add_co_u32_e32 v66, vcc, s0, v84
	ds_read2st64_b64 v[142:145], v187 offset0:44 offset1:46
	s_nop 0
	v_addc_co_u32_e32 v67, vcc, 0, v85, vcc
	ds_read_b64 v[84:85], v193
	global_load_dwordx4 v[138:141], v[66:67], off offset:1888
	v_mul_f64 v[66:67], v[80:81], v[110:111]
	v_fma_f64 v[22:23], v[22:23], v[78:79], -v[66:67]
	s_waitcnt vmcnt(8) lgkmcnt(1)
	v_mul_f64 v[78:79], v[74:75], v[144:145]
	v_fmac_f64_e32 v[78:79], v[20:21], v[76:77]
	v_add_f64 v[22:23], v[106:107], -v[22:23]
	v_add_f64 v[78:79], v[108:109], -v[78:79]
	v_fma_f64 v[66:67], v[106:107], 2.0, -v[22:23]
	v_fma_f64 v[106:107], v[108:109], 2.0, -v[78:79]
	ds_read2st64_b64 v[108:111], v187 offset0:40 offset1:42
	v_mul_f64 v[76:77], v[76:77], v[144:145]
	v_fma_f64 v[20:21], v[20:21], v[74:75], -v[76:77]
	v_add_f64 v[76:77], v[104:105], -v[20:21]
	s_waitcnt vmcnt(7)
	v_mul_f64 v[20:21], v[70:71], v[142:143]
	v_fmac_f64_e32 v[20:21], v[18:19], v[72:73]
	v_mul_f64 v[72:73], v[72:73], v[142:143]
	v_fma_f64 v[18:19], v[18:19], v[70:71], -v[72:73]
	ds_read2st64_b64 v[142:145], v187 offset0:36 offset1:38
	ds_read_b64 v[80:81], v194
	v_add_f64 v[18:19], v[102:103], -v[18:19]
	v_fma_f64 v[72:73], v[102:103], 2.0, -v[18:19]
	v_fma_f64 v[104:105], v[104:105], 2.0, -v[76:77]
	v_add_f64 v[60:61], v[64:65], -v[60:61]
	s_waitcnt vmcnt(6) lgkmcnt(2)
	v_mul_f64 v[70:71], v[114:115], v[110:111]
	v_fmac_f64_e32 v[70:71], v[16:17], v[116:117]
	v_add_f64 v[112:113], v[84:85], -v[70:71]
	v_mul_f64 v[70:71], v[116:117], v[110:111]
	v_fma_f64 v[16:17], v[16:17], v[114:115], -v[70:71]
	v_add_f64 v[110:111], v[100:101], -v[16:17]
	v_fma_f64 v[102:103], v[84:85], 2.0, -v[112:113]
	v_fma_f64 v[100:101], v[100:101], 2.0, -v[110:111]
	;; [unrolled: 1-line block ×3, first 2 shown]
	v_add_f64 v[50:51], v[54:55], -v[50:51]
	v_fma_f64 v[54:55], v[54:55], 2.0, -v[50:51]
	v_fma_f64 v[48:49], v[48:49], 2.0, -v[44:45]
	;; [unrolled: 1-line block ×4, first 2 shown]
	s_waitcnt vmcnt(5)
	v_mul_f64 v[16:17], v[118:119], v[108:109]
	v_mul_f64 v[70:71], v[120:121], v[108:109]
	v_fmac_f64_e32 v[16:17], v[14:15], v[120:121]
	v_fma_f64 v[14:15], v[14:15], v[118:119], -v[70:71]
	v_add_f64 v[16:17], v[150:151], -v[16:17]
	v_fma_f64 v[116:117], v[150:151], 2.0, -v[16:17]
	v_add_f64 v[14:15], v[96:97], -v[14:15]
	v_fma_f64 v[114:115], v[96:97], 2.0, -v[14:15]
	s_waitcnt vmcnt(3) lgkmcnt(1)
	v_mul_f64 v[70:71], v[122:123], v[144:145]
	v_fmac_f64_e32 v[70:71], v[12:13], v[124:125]
	v_add_f64 v[120:121], v[146:147], -v[70:71]
	v_mul_f64 v[70:71], v[124:125], v[144:145]
	v_fma_f64 v[12:13], v[12:13], v[122:123], -v[70:71]
	v_add_f64 v[118:119], v[98:99], -v[12:13]
	v_mul_f64 v[12:13], v[130:131], v[142:143]
	v_mul_f64 v[70:71], v[132:133], v[142:143]
	ds_read2st64_b64 v[122:125], v187 offset0:32 offset1:34
	v_fmac_f64_e32 v[12:13], v[10:11], v[132:133]
	v_fma_f64 v[10:11], v[10:11], v[130:131], -v[70:71]
	v_add_u32_e32 v70, v186, v153
	ds_read_b64 v[70:71], v70
	s_waitcnt lgkmcnt(2)
	v_add_f64 v[20:21], v[80:81], -v[20:21]
	v_fma_f64 v[74:75], v[80:81], 2.0, -v[20:21]
	s_waitcnt vmcnt(2) lgkmcnt(1)
	v_mul_f64 v[80:81], v[134:135], v[124:125]
	v_fmac_f64_e32 v[80:81], v[8:9], v[136:137]
	s_waitcnt lgkmcnt(0)
	v_add_f64 v[132:133], v[70:71], -v[80:81]
	v_fma_f64 v[150:151], v[70:71], 2.0, -v[132:133]
	v_mul_f64 v[70:71], v[136:137], v[124:125]
	v_fma_f64 v[8:9], v[8:9], v[134:135], -v[70:71]
	v_add_u32_e32 v70, v129, v152
	ds_read_b64 v[70:71], v70
	ds_read2st64_b64 v[134:137], v187 offset1:30
	v_add_f64 v[130:131], v[92:93], -v[8:9]
	s_waitcnt vmcnt(1)
	v_mul_f64 v[8:9], v[86:87], v[122:123]
	v_fmac_f64_e32 v[8:9], v[6:7], v[88:89]
	v_add_f64 v[12:13], v[148:149], -v[12:13]
	s_waitcnt lgkmcnt(1)
	v_add_f64 v[8:9], v[70:71], -v[8:9]
	v_fma_f64 v[96:97], v[148:149], 2.0, -v[12:13]
	v_fma_f64 v[148:149], v[92:93], 2.0, -v[130:131]
	v_fma_f64 v[92:93], v[70:71], 2.0, -v[8:9]
	v_mul_f64 v[70:71], v[88:89], v[122:123]
	v_fma_f64 v[6:7], v[6:7], v[86:87], -v[70:71]
	s_waitcnt vmcnt(0) lgkmcnt(0)
	v_mul_f64 v[70:71], v[138:139], v[136:137]
	v_fmac_f64_e32 v[70:71], v[4:5], v[140:141]
	v_add_f64 v[86:87], v[134:135], -v[70:71]
	v_mul_f64 v[70:71], v[140:141], v[136:137]
	v_fma_f64 v[4:5], v[4:5], v[138:139], -v[70:71]
	v_add_f64 v[84:85], v[2:3], -v[4:5]
	v_fma_f64 v[122:123], v[2:3], 2.0, -v[84:85]
	v_add_co_u32_e32 v2, vcc, s0, v0
	v_add_f64 v[6:7], v[90:91], -v[6:7]
	v_fma_f64 v[124:125], v[134:135], 2.0, -v[86:87]
	v_addc_co_u32_e32 v3, vcc, 0, v1, vcc
	v_fma_f64 v[90:91], v[90:91], 2.0, -v[6:7]
	global_store_dwordx4 v[0:1], v[122:125], off
	global_store_dwordx4 v[2:3], v[84:87], off offset:2048
	global_store_dwordx4 v[0:1], v[90:93], off offset:2048
	v_lshl_add_u64 v[0:1], v[126:127], 0, v[82:83]
	v_or_b32_e32 v82, 0x1000, v128
	global_store_dwordx4 v[0:1], v[6:9], off
	v_lshl_add_u64 v[0:1], v[126:127], 0, v[82:83]
	v_or_b32_e32 v82, 0x8800, v128
	v_add_f64 v[10:11], v[94:95], -v[10:11]
	global_store_dwordx4 v[0:1], v[148:151], off
	v_lshl_add_u64 v[0:1], v[126:127], 0, v[82:83]
	v_or_b32_e32 v82, 0x1800, v128
	v_fma_f64 v[94:95], v[94:95], 2.0, -v[10:11]
	global_store_dwordx4 v[0:1], v[130:133], off
	v_lshl_add_u64 v[0:1], v[126:127], 0, v[82:83]
	v_or_b32_e32 v82, 0x9000, v128
	global_store_dwordx4 v[0:1], v[94:97], off
	v_lshl_add_u64 v[0:1], v[126:127], 0, v[82:83]
	v_or_b32_e32 v82, 0x2000, v128
	v_fma_f64 v[146:147], v[146:147], 2.0, -v[120:121]
	v_fma_f64 v[144:145], v[98:99], 2.0, -v[118:119]
	global_store_dwordx4 v[0:1], v[10:13], off
	v_lshl_add_u64 v[0:1], v[126:127], 0, v[82:83]
	v_or_b32_e32 v82, 0x9800, v128
	global_store_dwordx4 v[0:1], v[144:147], off
	v_lshl_add_u64 v[0:1], v[126:127], 0, v[82:83]
	v_or_b32_e32 v82, 0x2800, v128
	;; [unrolled: 3-line block ×6, first 2 shown]
	global_store_dwordx4 v[0:1], v[110:113], off
	v_lshl_add_u64 v[0:1], v[126:127], 0, v[82:83]
	global_store_dwordx4 v[0:1], v[72:75], off
	v_add_co_u32_e32 v0, vcc, s0, v0
	v_or_b32_e32 v82, 0x4000, v128
	s_nop 0
	v_addc_co_u32_e32 v1, vcc, 0, v1, vcc
	global_store_dwordx4 v[0:1], v[18:21], off offset:2048
	v_lshl_add_u64 v[0:1], v[126:127], 0, v[82:83]
	v_or_b32_e32 v82, 0xb800, v128
	global_store_dwordx4 v[0:1], v[104:107], off
	v_lshl_add_u64 v[0:1], v[126:127], 0, v[82:83]
	v_or_b32_e32 v82, 0x4800, v128
	global_store_dwordx4 v[0:1], v[76:79], off
	v_lshl_add_u64 v[0:1], v[126:127], 0, v[82:83]
	v_or_b32_e32 v82, 0xc000, v128
	global_store_dwordx4 v[0:1], v[66:69], off
	v_lshl_add_u64 v[0:1], v[126:127], 0, v[82:83]
	v_or_b32_e32 v82, 0x5000, v128
	global_store_dwordx4 v[0:1], v[22:25], off
	v_lshl_add_u64 v[0:1], v[126:127], 0, v[82:83]
	v_or_b32_e32 v82, 0xc800, v128
	global_store_dwordx4 v[0:1], v[62:65], off
	v_lshl_add_u64 v[0:1], v[126:127], 0, v[82:83]
	v_or_b32_e32 v82, 0x5800, v128
	global_store_dwordx4 v[0:1], v[58:61], off
	v_lshl_add_u64 v[0:1], v[126:127], 0, v[82:83]
	v_or_b32_e32 v82, 0xd000, v128
	global_store_dwordx4 v[0:1], v[54:57], off
	v_lshl_add_u64 v[0:1], v[126:127], 0, v[82:83]
	v_or_b32_e32 v82, 0x6000, v128
	global_store_dwordx4 v[0:1], v[50:53], off
	v_lshl_add_u64 v[0:1], v[126:127], 0, v[82:83]
	v_or_b32_e32 v82, 0xd800, v128
	global_store_dwordx4 v[0:1], v[46:49], off
	v_lshl_add_u64 v[0:1], v[126:127], 0, v[82:83]
	v_or_b32_e32 v82, 0x6800, v128
	global_store_dwordx4 v[0:1], v[42:45], off
	v_lshl_add_u64 v[0:1], v[126:127], 0, v[82:83]
	v_or_b32_e32 v82, 0xe000, v128
	global_store_dwordx4 v[0:1], v[38:41], off
	v_lshl_add_u64 v[0:1], v[126:127], 0, v[82:83]
	v_or_b32_e32 v82, 0x7000, v128
	global_store_dwordx4 v[0:1], v[34:37], off
	v_lshl_add_u64 v[0:1], v[126:127], 0, v[82:83]
	v_or_b32_e32 v82, 0xe800, v128
	global_store_dwordx4 v[0:1], v[30:33], off
	v_lshl_add_u64 v[0:1], v[126:127], 0, v[82:83]
	global_store_dwordx4 v[0:1], v[26:29], off
.LBB0_15:
	s_endpgm
	.section	.rodata,"a",@progbits
	.p2align	6, 0x0
	.amdhsa_kernel fft_rtc_fwd_len3840_factors_10_6_2_2_2_2_2_2_wgs_128_tpt_128_halfLds_dp_ip_CI_unitstride_sbrr_dirReg
		.amdhsa_group_segment_fixed_size 0
		.amdhsa_private_segment_fixed_size 0
		.amdhsa_kernarg_size 88
		.amdhsa_user_sgpr_count 2
		.amdhsa_user_sgpr_dispatch_ptr 0
		.amdhsa_user_sgpr_queue_ptr 0
		.amdhsa_user_sgpr_kernarg_segment_ptr 1
		.amdhsa_user_sgpr_dispatch_id 0
		.amdhsa_user_sgpr_kernarg_preload_length 0
		.amdhsa_user_sgpr_kernarg_preload_offset 0
		.amdhsa_user_sgpr_private_segment_size 0
		.amdhsa_uses_dynamic_stack 0
		.amdhsa_enable_private_segment 0
		.amdhsa_system_sgpr_workgroup_id_x 1
		.amdhsa_system_sgpr_workgroup_id_y 0
		.amdhsa_system_sgpr_workgroup_id_z 0
		.amdhsa_system_sgpr_workgroup_info 0
		.amdhsa_system_vgpr_workitem_id 0
		.amdhsa_next_free_vgpr 226
		.amdhsa_next_free_sgpr 22
		.amdhsa_accum_offset 228
		.amdhsa_reserve_vcc 1
		.amdhsa_float_round_mode_32 0
		.amdhsa_float_round_mode_16_64 0
		.amdhsa_float_denorm_mode_32 3
		.amdhsa_float_denorm_mode_16_64 3
		.amdhsa_dx10_clamp 1
		.amdhsa_ieee_mode 1
		.amdhsa_fp16_overflow 0
		.amdhsa_tg_split 0
		.amdhsa_exception_fp_ieee_invalid_op 0
		.amdhsa_exception_fp_denorm_src 0
		.amdhsa_exception_fp_ieee_div_zero 0
		.amdhsa_exception_fp_ieee_overflow 0
		.amdhsa_exception_fp_ieee_underflow 0
		.amdhsa_exception_fp_ieee_inexact 0
		.amdhsa_exception_int_div_zero 0
	.end_amdhsa_kernel
	.text
.Lfunc_end0:
	.size	fft_rtc_fwd_len3840_factors_10_6_2_2_2_2_2_2_wgs_128_tpt_128_halfLds_dp_ip_CI_unitstride_sbrr_dirReg, .Lfunc_end0-fft_rtc_fwd_len3840_factors_10_6_2_2_2_2_2_2_wgs_128_tpt_128_halfLds_dp_ip_CI_unitstride_sbrr_dirReg
                                        ; -- End function
	.section	.AMDGPU.csdata,"",@progbits
; Kernel info:
; codeLenInByte = 23748
; NumSgprs: 28
; NumVgprs: 226
; NumAgprs: 0
; TotalNumVgprs: 226
; ScratchSize: 0
; MemoryBound: 1
; FloatMode: 240
; IeeeMode: 1
; LDSByteSize: 0 bytes/workgroup (compile time only)
; SGPRBlocks: 3
; VGPRBlocks: 28
; NumSGPRsForWavesPerEU: 28
; NumVGPRsForWavesPerEU: 226
; AccumOffset: 228
; Occupancy: 2
; WaveLimiterHint : 1
; COMPUTE_PGM_RSRC2:SCRATCH_EN: 0
; COMPUTE_PGM_RSRC2:USER_SGPR: 2
; COMPUTE_PGM_RSRC2:TRAP_HANDLER: 0
; COMPUTE_PGM_RSRC2:TGID_X_EN: 1
; COMPUTE_PGM_RSRC2:TGID_Y_EN: 0
; COMPUTE_PGM_RSRC2:TGID_Z_EN: 0
; COMPUTE_PGM_RSRC2:TIDIG_COMP_CNT: 0
; COMPUTE_PGM_RSRC3_GFX90A:ACCUM_OFFSET: 56
; COMPUTE_PGM_RSRC3_GFX90A:TG_SPLIT: 0
	.text
	.p2alignl 6, 3212836864
	.fill 256, 4, 3212836864
	.type	__hip_cuid_d58c38dc1062bffb,@object ; @__hip_cuid_d58c38dc1062bffb
	.section	.bss,"aw",@nobits
	.globl	__hip_cuid_d58c38dc1062bffb
__hip_cuid_d58c38dc1062bffb:
	.byte	0                               ; 0x0
	.size	__hip_cuid_d58c38dc1062bffb, 1

	.ident	"AMD clang version 19.0.0git (https://github.com/RadeonOpenCompute/llvm-project roc-6.4.0 25133 c7fe45cf4b819c5991fe208aaa96edf142730f1d)"
	.section	".note.GNU-stack","",@progbits
	.addrsig
	.addrsig_sym __hip_cuid_d58c38dc1062bffb
	.amdgpu_metadata
---
amdhsa.kernels:
  - .agpr_count:     0
    .args:
      - .actual_access:  read_only
        .address_space:  global
        .offset:         0
        .size:           8
        .value_kind:     global_buffer
      - .offset:         8
        .size:           8
        .value_kind:     by_value
      - .actual_access:  read_only
        .address_space:  global
        .offset:         16
        .size:           8
        .value_kind:     global_buffer
      - .actual_access:  read_only
        .address_space:  global
        .offset:         24
        .size:           8
        .value_kind:     global_buffer
      - .offset:         32
        .size:           8
        .value_kind:     by_value
      - .actual_access:  read_only
        .address_space:  global
        .offset:         40
        .size:           8
        .value_kind:     global_buffer
      - .actual_access:  read_only
        .address_space:  global
        .offset:         48
        .size:           8
        .value_kind:     global_buffer
      - .offset:         56
        .size:           4
        .value_kind:     by_value
      - .actual_access:  read_only
        .address_space:  global
        .offset:         64
        .size:           8
        .value_kind:     global_buffer
      - .actual_access:  read_only
        .address_space:  global
        .offset:         72
        .size:           8
        .value_kind:     global_buffer
      - .address_space:  global
        .offset:         80
        .size:           8
        .value_kind:     global_buffer
    .group_segment_fixed_size: 0
    .kernarg_segment_align: 8
    .kernarg_segment_size: 88
    .language:       OpenCL C
    .language_version:
      - 2
      - 0
    .max_flat_workgroup_size: 128
    .name:           fft_rtc_fwd_len3840_factors_10_6_2_2_2_2_2_2_wgs_128_tpt_128_halfLds_dp_ip_CI_unitstride_sbrr_dirReg
    .private_segment_fixed_size: 0
    .sgpr_count:     28
    .sgpr_spill_count: 0
    .symbol:         fft_rtc_fwd_len3840_factors_10_6_2_2_2_2_2_2_wgs_128_tpt_128_halfLds_dp_ip_CI_unitstride_sbrr_dirReg.kd
    .uniform_work_group_size: 1
    .uses_dynamic_stack: false
    .vgpr_count:     226
    .vgpr_spill_count: 0
    .wavefront_size: 64
amdhsa.target:   amdgcn-amd-amdhsa--gfx950
amdhsa.version:
  - 1
  - 2
...

	.end_amdgpu_metadata
